;; amdgpu-corpus repo=ROCm/rocFFT kind=compiled arch=gfx1201 opt=O3
	.text
	.amdgcn_target "amdgcn-amd-amdhsa--gfx1201"
	.amdhsa_code_object_version 6
	.protected	bluestein_single_back_len1620_dim1_sp_op_CI_CI ; -- Begin function bluestein_single_back_len1620_dim1_sp_op_CI_CI
	.globl	bluestein_single_back_len1620_dim1_sp_op_CI_CI
	.p2align	8
	.type	bluestein_single_back_len1620_dim1_sp_op_CI_CI,@function
bluestein_single_back_len1620_dim1_sp_op_CI_CI: ; @bluestein_single_back_len1620_dim1_sp_op_CI_CI
; %bb.0:
	s_load_b128 s[12:15], s[0:1], 0x28
	v_mul_u32_u24_e32 v1, 0x195, v0
	s_mov_b32 s2, exec_lo
	v_mov_b32_e32 v85, 0
	s_delay_alu instid0(VALU_DEP_2) | instskip(NEXT) | instid1(VALU_DEP_1)
	v_lshrrev_b32_e32 v1, 16, v1
	v_add_nc_u32_e32 v84, ttmp9, v1
	s_wait_kmcnt 0x0
	s_delay_alu instid0(VALU_DEP_1)
	v_cmpx_gt_u64_e64 s[12:13], v[84:85]
	s_cbranch_execz .LBB0_34
; %bb.1:
	s_clause 0x1
	s_load_b128 s[4:7], s[0:1], 0x18
	s_load_b128 s[8:11], s[0:1], 0x0
	v_mul_lo_u16 v1, 0xa2, v1
	s_delay_alu instid0(VALU_DEP_1) | instskip(NEXT) | instid1(VALU_DEP_1)
	v_sub_nc_u16 v0, v0, v1
	v_and_b32_e32 v115, 0xffff, v0
	s_wait_kmcnt 0x0
	s_load_b128 s[16:19], s[4:5], 0x0
	s_wait_kmcnt 0x0
	v_mad_co_u64_u32 v[1:2], null, s18, v84, 0
	v_mad_co_u64_u32 v[3:4], null, s16, v115, 0
	s_mul_u64 s[2:3], s[16:17], 0x510
	s_delay_alu instid0(VALU_DEP_1) | instskip(NEXT) | instid1(VALU_DEP_1)
	v_mad_co_u64_u32 v[5:6], null, s19, v84, v[2:3]
	v_mov_b32_e32 v2, v5
	s_delay_alu instid0(VALU_DEP_3)
	v_mad_co_u64_u32 v[6:7], null, s17, v115, v[4:5]
	v_lshlrev_b32_e32 v116, 3, v115
	s_clause 0x3
	global_load_b64 v[93:94], v116, s[8:9]
	global_load_b64 v[95:96], v116, s[8:9] offset:1296
	global_load_b64 v[99:100], v116, s[8:9] offset:2592
	;; [unrolled: 1-line block ×3, first 2 shown]
	v_dual_mov_b32 v4, v6 :: v_dual_add_nc_u32 v25, 0x800, v116
	v_lshlrev_b64_e32 v[1:2], 3, v[1:2]
	s_clause 0x3
	global_load_b64 v[89:90], v116, s[8:9] offset:5184
	global_load_b64 v[91:92], v116, s[8:9] offset:6480
	;; [unrolled: 1-line block ×4, first 2 shown]
	v_lshlrev_b64_e32 v[3:4], 3, v[3:4]
	v_add_co_u32 v1, vcc_lo, s14, v1
	v_add_co_ci_u32_e32 v2, vcc_lo, s15, v2, vcc_lo
	s_delay_alu instid0(VALU_DEP_2) | instskip(SKIP_1) | instid1(VALU_DEP_2)
	v_add_co_u32 v1, vcc_lo, v1, v3
	s_wait_alu 0xfffd
	v_add_co_ci_u32_e32 v2, vcc_lo, v2, v4, vcc_lo
	s_delay_alu instid0(VALU_DEP_2) | instskip(SKIP_1) | instid1(VALU_DEP_2)
	v_add_co_u32 v3, vcc_lo, v1, s2
	s_wait_alu 0xfffd
	v_add_co_ci_u32_e32 v4, vcc_lo, s3, v2, vcc_lo
	global_load_b64 v[1:2], v[1:2], off
	v_add_co_u32 v5, vcc_lo, v3, s2
	s_wait_alu 0xfffd
	v_add_co_ci_u32_e32 v6, vcc_lo, s3, v4, vcc_lo
	s_delay_alu instid0(VALU_DEP_2) | instskip(SKIP_1) | instid1(VALU_DEP_2)
	v_add_co_u32 v7, vcc_lo, v5, s2
	s_wait_alu 0xfffd
	v_add_co_ci_u32_e32 v8, vcc_lo, s3, v6, vcc_lo
	s_delay_alu instid0(VALU_DEP_2) | instskip(SKIP_1) | instid1(VALU_DEP_2)
	v_add_co_u32 v9, vcc_lo, v7, s2
	s_wait_alu 0xfffd
	v_add_co_ci_u32_e32 v10, vcc_lo, s3, v8, vcc_lo
	s_clause 0x2
	global_load_b64 v[3:4], v[3:4], off
	global_load_b64 v[5:6], v[5:6], off
	;; [unrolled: 1-line block ×3, first 2 shown]
	v_add_co_u32 v11, vcc_lo, v9, s2
	s_wait_alu 0xfffd
	v_add_co_ci_u32_e32 v12, vcc_lo, s3, v10, vcc_lo
	global_load_b64 v[9:10], v[9:10], off
	v_add_co_u32 v13, vcc_lo, v11, s2
	s_wait_alu 0xfffd
	v_add_co_ci_u32_e32 v14, vcc_lo, s3, v12, vcc_lo
	global_load_b64 v[11:12], v[11:12], off
	;; [unrolled: 4-line block ×4, first 2 shown]
	v_add_co_u32 v19, vcc_lo, v17, s2
	s_wait_alu 0xfffd
	v_add_co_ci_u32_e32 v20, vcc_lo, s3, v18, vcc_lo
	s_load_b64 s[2:3], s[0:1], 0x38
	v_cmp_gt_u16_e32 vcc_lo, 54, v0
	s_wait_loadcnt 0x7
	v_mul_f32_e32 v21, v2, v94
	global_load_b64 v[17:18], v[17:18], off
	s_clause 0x1
	global_load_b64 v[101:102], v116, s[8:9] offset:10368
	global_load_b64 v[103:104], v116, s[8:9] offset:11664
	global_load_b64 v[19:20], v[19:20], off
	v_dual_mul_f32 v22, v1, v94 :: v_dual_add_nc_u32 v27, 0x2800, v116
	v_dual_fmac_f32 v21, v1, v93 :: v_dual_add_nc_u32 v28, 0x1400, v116
	s_load_b128 s[4:7], s[6:7], 0x0
	s_delay_alu instid0(VALU_DEP_2)
	v_fma_f32 v22, v2, v93, -v22
	s_wait_loadcnt 0xa
	v_mul_f32_e32 v23, v4, v96
	s_wait_loadcnt 0x9
	v_mul_f32_e32 v2, v5, v100
	v_mul_f32_e32 v1, v6, v100
	s_delay_alu instid0(VALU_DEP_2) | instskip(SKIP_2) | instid1(VALU_DEP_3)
	v_fma_f32 v2, v6, v99, -v2
	s_wait_loadcnt 0x7
	v_mul_f32_e32 v6, v9, v90
	v_dual_mul_f32 v24, v3, v96 :: v_dual_fmac_f32 v1, v5, v99
	v_mul_f32_e32 v5, v10, v90
	s_delay_alu instid0(VALU_DEP_3) | instskip(NEXT) | instid1(VALU_DEP_3)
	v_fma_f32 v6, v10, v89, -v6
	v_fma_f32 v24, v4, v95, -v24
	v_mul_f32_e32 v4, v7, v86
	v_dual_fmac_f32 v23, v3, v95 :: v_dual_add_nc_u32 v26, 0x1c00, v116
	v_mul_f32_e32 v3, v8, v86
	s_wait_loadcnt 0x5
	v_mul_f32_e32 v10, v13, v98
	v_fma_f32 v4, v8, v85, -v4
	v_dual_mul_f32 v8, v11, v92 :: v_dual_fmac_f32 v5, v9, v89
	v_fmac_f32_e32 v3, v7, v85
	v_mul_f32_e32 v7, v12, v92
	v_mul_f32_e32 v9, v14, v98
	v_fma_f32 v10, v14, v97, -v10
	v_fma_f32 v8, v12, v91, -v8
	s_wait_loadcnt 0x4
	s_delay_alu instid0(VALU_DEP_3) | instskip(NEXT) | instid1(VALU_DEP_1)
	v_dual_mul_f32 v12, v15, v88 :: v_dual_fmac_f32 v9, v13, v97
	v_fma_f32 v12, v16, v87, -v12
	s_wait_loadcnt 0x2
	v_dual_mul_f32 v14, v17, v102 :: v_dual_fmac_f32 v7, v11, v91
	v_mul_f32_e32 v11, v16, v88
	v_mul_f32_e32 v13, v18, v102
	s_wait_loadcnt 0x0
	v_mul_f32_e32 v29, v19, v104
	v_fma_f32 v14, v18, v101, -v14
	v_fmac_f32_e32 v11, v15, v87
	v_mul_f32_e32 v15, v20, v104
	v_fmac_f32_e32 v13, v17, v101
	v_fma_f32 v16, v20, v103, -v29
	s_delay_alu instid0(VALU_DEP_3)
	v_fmac_f32_e32 v15, v19, v103
	ds_store_2addr_b64 v116, v[21:22], v[23:24] offset1:162
	ds_store_2addr_b64 v25, v[1:2], v[3:4] offset0:68 offset1:230
	ds_store_2addr_b64 v28, v[5:6], v[7:8] offset0:8 offset1:170
	;; [unrolled: 1-line block ×4, first 2 shown]
	global_wb scope:SCOPE_SE
	s_wait_dscnt 0x0
	s_wait_kmcnt 0x0
	s_barrier_signal -1
	s_barrier_wait -1
	global_inv scope:SCOPE_SE
	ds_load_2addr_b64 v[1:4], v116 offset1:162
	ds_load_2addr_b64 v[5:8], v25 offset0:68 offset1:230
	ds_load_2addr_b64 v[9:12], v28 offset0:8 offset1:170
	;; [unrolled: 1-line block ×4, first 2 shown]
	v_mul_lo_u16 v21, v0, 10
	v_add_nc_u32_e32 v25, 0x2000, v116
	v_add_nc_u32_e32 v24, 0xa00, v116
	global_wb scope:SCOPE_SE
	s_wait_dscnt 0x0
	s_barrier_signal -1
	v_and_b32_e32 v21, 0xffff, v21
	s_barrier_wait -1
	global_inv scope:SCOPE_SE
	v_dual_add_f32 v40, v3, v7 :: v_dual_sub_f32 v27, v5, v9
	v_sub_f32_e32 v52, v8, v12
	v_add_f32_e32 v22, v9, v13
	v_dual_sub_f32 v29, v17, v13 :: v_dual_add_f32 v54, v8, v20
	v_dual_add_f32 v33, v2, v6 :: v_dual_sub_f32 v42, v8, v20
	v_dual_sub_f32 v44, v7, v11 :: v_dual_lshlrev_b32 v117, 3, v21
	v_dual_add_f32 v21, v1, v5 :: v_dual_sub_f32 v48, v15, v19
	v_dual_sub_f32 v23, v6, v18 :: v_dual_add_f32 v50, v12, v16
	v_dual_sub_f32 v26, v10, v14 :: v_dual_sub_f32 v31, v9, v5
	v_dual_add_f32 v34, v10, v14 :: v_dual_sub_f32 v35, v9, v13
	v_sub_f32_e32 v36, v6, v10
	v_add_f32_e32 v38, v6, v18
	v_dual_sub_f32 v6, v10, v6 :: v_dual_add_f32 v9, v21, v9
	v_fma_f32 v21, -0.5, v22, v1
	v_add_f32_e32 v22, v27, v29
	v_dual_add_f32 v41, v11, v15 :: v_dual_add_f32 v10, v33, v10
	v_add_f32_e32 v30, v5, v17
	v_dual_sub_f32 v32, v13, v17 :: v_dual_add_f32 v49, v4, v8
	s_delay_alu instid0(VALU_DEP_3) | instskip(SKIP_1) | instid1(VALU_DEP_3)
	v_dual_sub_f32 v43, v12, v16 :: v_dual_add_f32 v10, v10, v14
	v_dual_sub_f32 v45, v19, v15 :: v_dual_sub_f32 v8, v12, v8
	v_dual_add_f32 v12, v49, v12 :: v_dual_sub_f32 v37, v18, v14
	v_fma_f32 v27, -0.5, v30, v1
	v_fma_f32 v29, -0.5, v34, v2
	;; [unrolled: 1-line block ×3, first 2 shown]
	v_add_f32_e32 v1, v31, v32
	v_fma_f32 v31, -0.5, v38, v2
	v_dual_add_f32 v32, v44, v45 :: v_dual_sub_f32 v39, v14, v18
	v_add_f32_e32 v30, v36, v37
	v_dual_sub_f32 v5, v5, v17 :: v_dual_add_f32 v46, v7, v19
	v_dual_sub_f32 v51, v11, v15 :: v_dual_add_f32 v12, v12, v16
	s_delay_alu instid0(VALU_DEP_4) | instskip(SKIP_4) | instid1(VALU_DEP_4)
	v_add_f32_e32 v2, v6, v39
	v_add_f32_e32 v6, v40, v11
	v_dual_sub_f32 v53, v20, v16 :: v_dual_fmamk_f32 v38, v35, 0x3f737871, v31
	v_sub_f32_e32 v47, v11, v7
	v_dual_sub_f32 v7, v7, v19 :: v_dual_fmamk_f32 v14, v5, 0xbf737871, v29
	v_dual_sub_f32 v55, v16, v20 :: v_dual_add_f32 v6, v6, v15
	v_fmac_f32_e32 v4, -0.5, v54
	v_fma_f32 v11, -0.5, v41, v3
	v_fma_f32 v3, -0.5, v46, v3
	v_dual_add_f32 v36, v52, v53 :: v_dual_add_f32 v33, v47, v48
	v_dual_add_f32 v8, v8, v55 :: v_dual_add_f32 v9, v9, v13
	v_fmamk_f32 v16, v7, 0xbf737871, v34
	v_dual_fmamk_f32 v13, v23, 0x3f737871, v21 :: v_dual_add_f32 v10, v10, v18
	v_fmac_f32_e32 v21, 0xbf737871, v23
	v_dual_fmac_f32 v29, 0x3f737871, v5 :: v_dual_fmamk_f32 v40, v51, 0x3f737871, v4
	v_fmac_f32_e32 v31, 0xbf737871, v35
	v_fmac_f32_e32 v34, 0x3f737871, v7
	v_dual_fmac_f32 v4, 0xbf737871, v51 :: v_dual_add_f32 v9, v9, v17
	v_fmac_f32_e32 v14, 0xbf167918, v35
	s_delay_alu instid0(VALU_DEP_3) | instskip(SKIP_1) | instid1(VALU_DEP_4)
	v_dual_fmac_f32 v13, 0x3f167918, v26 :: v_dual_fmac_f32 v34, 0x3f167918, v51
	v_fmac_f32_e32 v38, 0xbf167918, v5
	v_dual_fmac_f32 v31, 0x3f167918, v5 :: v_dual_fmac_f32 v4, 0x3f167918, v7
	v_dual_add_f32 v5, v6, v19 :: v_dual_add_f32 v6, v12, v20
	v_fmamk_f32 v39, v43, 0xbf737871, v3
	v_dual_fmac_f32 v21, 0xbf167918, v26 :: v_dual_fmac_f32 v16, 0xbf167918, v51
	v_fmac_f32_e32 v40, 0xbf167918, v7
	v_dual_fmac_f32 v31, 0x3e9e377a, v2 :: v_dual_fmac_f32 v34, 0x3e9e377a, v36
	s_delay_alu instid0(VALU_DEP_3) | instskip(NEXT) | instid1(VALU_DEP_3)
	v_dual_fmac_f32 v21, 0x3e9e377a, v22 :: v_dual_fmac_f32 v4, 0x3e9e377a, v8
	v_dual_sub_f32 v7, v9, v5 :: v_dual_fmac_f32 v40, 0x3e9e377a, v8
	v_sub_f32_e32 v8, v10, v6
	v_fmac_f32_e32 v39, 0x3f167918, v42
	v_fmac_f32_e32 v38, 0x3e9e377a, v2
	;; [unrolled: 1-line block ×3, first 2 shown]
	v_mul_f32_e32 v18, 0x3f737871, v40
	v_dual_fmac_f32 v13, 0x3e9e377a, v22 :: v_dual_fmac_f32 v16, 0x3e9e377a, v36
	v_fmac_f32_e32 v39, 0x3e9e377a, v33
	v_fmamk_f32 v37, v26, 0xbf737871, v27
	v_fmac_f32_e32 v27, 0x3f737871, v26
	v_add_f32_e32 v2, v10, v6
	v_mul_f32_e32 v10, 0x3f4f1bbd, v34
	v_mul_f32_e32 v20, 0xbf737871, v39
                                        ; implicit-def: $vgpr36
	s_delay_alu instid0(VALU_DEP_1) | instskip(SKIP_3) | instid1(VALU_DEP_3)
	v_fmac_f32_e32 v20, 0x3e9e377a, v40
	v_fmac_f32_e32 v27, 0xbf167918, v23
	v_fmac_f32_e32 v18, 0x3e9e377a, v39
	v_fmac_f32_e32 v3, 0x3f737871, v43
	v_fmac_f32_e32 v27, 0x3e9e377a, v1
	v_fmac_f32_e32 v29, 0x3f167918, v35
	s_delay_alu instid0(VALU_DEP_3) | instskip(NEXT) | instid1(VALU_DEP_2)
	v_fmac_f32_e32 v3, 0xbf167918, v42
	v_fmac_f32_e32 v29, 0x3e9e377a, v30
	;; [unrolled: 1-line block ×3, first 2 shown]
	s_delay_alu instid0(VALU_DEP_3) | instskip(NEXT) | instid1(VALU_DEP_2)
	v_fmac_f32_e32 v3, 0x3e9e377a, v33
	v_fmac_f32_e32 v37, 0x3e9e377a, v1
	v_add_f32_e32 v1, v9, v5
	v_mul_f32_e32 v9, 0x3e9e377a, v4
	s_delay_alu instid0(VALU_DEP_4) | instskip(NEXT) | instid1(VALU_DEP_2)
	v_mul_f32_e32 v5, 0x3e9e377a, v3
	v_fma_f32 v26, 0xbf737871, v3, -v9
	v_fmamk_f32 v15, v42, 0x3f737871, v11
	s_delay_alu instid0(VALU_DEP_3) | instskip(SKIP_1) | instid1(VALU_DEP_3)
	v_fma_f32 v22, 0x3f737871, v4, -v5
	v_add_f32_e32 v9, v37, v18
	v_dual_add_f32 v12, v31, v26 :: v_dual_fmac_f32 v15, 0x3f167918, v43
	s_delay_alu instid0(VALU_DEP_3) | instskip(SKIP_1) | instid1(VALU_DEP_3)
	v_sub_f32_e32 v30, v27, v22
	v_sub_f32_e32 v31, v31, v26
	v_fmac_f32_e32 v15, 0x3e9e377a, v32
	s_delay_alu instid0(VALU_DEP_1) | instskip(SKIP_2) | instid1(VALU_DEP_3)
	v_mul_f32_e32 v19, 0xbf167918, v15
	v_mul_f32_e32 v17, 0x3f4f1bbd, v15
	v_sub_f32_e32 v15, v37, v18
	v_fmac_f32_e32 v19, 0x3f4f1bbd, v16
	v_fmac_f32_e32 v11, 0xbf737871, v42
	s_delay_alu instid0(VALU_DEP_4) | instskip(SKIP_1) | instid1(VALU_DEP_4)
	v_fmac_f32_e32 v17, 0x3f167918, v16
	v_sub_f32_e32 v16, v38, v20
	v_add_f32_e32 v4, v14, v19
	s_delay_alu instid0(VALU_DEP_4) | instskip(NEXT) | instid1(VALU_DEP_4)
	v_fmac_f32_e32 v11, 0xbf167918, v43
	v_add_f32_e32 v3, v13, v17
	v_dual_sub_f32 v13, v13, v17 :: v_dual_sub_f32 v14, v14, v19
	s_delay_alu instid0(VALU_DEP_3) | instskip(NEXT) | instid1(VALU_DEP_1)
	v_fmac_f32_e32 v11, 0x3e9e377a, v32
	v_mul_f32_e32 v6, 0x3f4f1bbd, v11
	v_fma_f32 v33, 0xbf167918, v11, -v10
	v_dual_add_f32 v11, v27, v22 :: v_dual_add_f32 v10, v38, v20
                                        ; implicit-def: $vgpr38
	s_delay_alu instid0(VALU_DEP_3) | instskip(NEXT) | instid1(VALU_DEP_3)
	v_fma_f32 v23, 0x3f167918, v34, -v6
	v_add_f32_e32 v6, v29, v33
	v_sub_f32_e32 v33, v29, v33
	s_delay_alu instid0(VALU_DEP_3)
	v_add_f32_e32 v5, v21, v23
	v_sub_f32_e32 v32, v21, v23
	ds_store_b128 v117, v[1:4]
	ds_store_b128 v117, v[9:12] offset:16
	ds_store_b128 v117, v[5:8] offset:32
	;; [unrolled: 1-line block ×4, first 2 shown]
	global_wb scope:SCOPE_SE
	s_wait_dscnt 0x0
	s_barrier_signal -1
	s_barrier_wait -1
	global_inv scope:SCOPE_SE
	ds_load_2addr_b64 v[20:23], v116 offset1:162
	ds_load_2addr_b64 v[16:19], v24 offset0:4 offset1:220
	ds_load_2addr_b64 v[24:27], v25 offset0:56 offset1:218
	;; [unrolled: 1-line block ×3, first 2 shown]
	ds_load_b64 v[34:35], v116 offset:11232
	s_and_saveexec_b32 s0, vcc_lo
	s_cbranch_execz .LBB0_3
; %bb.2:
	ds_load_b64 v[32:33], v116 offset:3888
	ds_load_b64 v[36:37], v116 offset:8208
	;; [unrolled: 1-line block ×3, first 2 shown]
.LBB0_3:
	s_wait_alu 0xfffe
	s_or_b32 exec_lo, exec_lo, s0
	v_and_b32_e32 v0, 0xff, v115
	v_add_co_u32 v54, s0, 0xa2, v115
	s_wait_alu 0xf1ff
	v_add_co_ci_u32_e64 v55, null, 0, 0, s0
	s_delay_alu instid0(VALU_DEP_3)
	v_mul_lo_u16 v0, 0xcd, v0
	v_add_co_u32 v52, s0, 0x144, v115
	v_and_b32_e32 v76, 0xffff, v54
	s_wait_alu 0xf1ff
	v_add_co_ci_u32_e64 v53, null, 0, 0, s0
	v_lshrrev_b16 v40, 11, v0
	v_add_co_u32 v129, s0, 0x1e6, v115
	v_and_b32_e32 v60, 0xffff, v52
	v_mul_u32_u24_e32 v0, 0xcccd, v76
	s_wait_alu 0xf1ff
	v_add_co_ci_u32_e64 v130, null, 0, 0, s0
	v_and_b32_e32 v61, 0xffff, v129
	v_mul_u32_u24_e32 v1, 0xcccd, v60
	v_lshrrev_b32_e32 v41, 19, v0
	v_mul_lo_u16 v0, v40, 10
	v_and_b32_e32 v40, 0xffff, v40
	v_mul_u32_u24_e32 v2, 0xcccd, v61
	v_lshrrev_b32_e32 v42, 19, v1
	v_mul_lo_u16 v1, v41, 10
	v_sub_nc_u16 v0, v115, v0
	v_mul_u32_u24_e32 v40, 30, v40
	v_lshrrev_b32_e32 v118, 19, v2
	v_mul_lo_u16 v2, v42, 10
	v_sub_nc_u16 v43, v54, v1
	v_and_b32_e32 v44, 0xff, v0
	s_delay_alu instid0(VALU_DEP_4) | instskip(NEXT) | instid1(VALU_DEP_4)
	v_mul_lo_u16 v0, v118, 10
	v_sub_nc_u16 v45, v52, v2
	s_delay_alu instid0(VALU_DEP_4) | instskip(NEXT) | instid1(VALU_DEP_4)
	v_lshlrev_b16 v1, 1, v43
	v_lshlrev_b32_e32 v2, 4, v44
	v_mad_u16 v41, v41, 30, v43
	v_sub_nc_u16 v119, v129, v0
	v_lshlrev_b16 v0, 1, v45
	v_and_b32_e32 v1, 0xffff, v1
	global_load_b128 v[12:15], v2, s[10:11]
	v_and_b32_e32 v41, 0xffff, v41
	v_add_lshl_u32 v122, v40, v44, 3
	v_and_b32_e32 v0, 0xffff, v0
	v_lshlrev_b32_e32 v1, 3, v1
	v_mad_u16 v42, v42, 30, v45
	v_lshlrev_b32_e32 v121, 3, v41
	s_delay_alu instid0(VALU_DEP_4) | instskip(SKIP_3) | instid1(VALU_DEP_1)
	v_lshlrev_b32_e32 v0, 3, v0
	global_load_b128 v[8:11], v1, s[10:11]
	v_lshlrev_b16 v2, 1, v119
	s_wait_loadcnt_dscnt 0x103
	v_dual_mul_f32 v41, v18, v13 :: v_dual_and_b32 v2, 0xffff, v2
	s_wait_dscnt 0x2
	v_dual_mul_f32 v40, v19, v13 :: v_dual_mul_f32 v43, v24, v15
	s_delay_alu instid0(VALU_DEP_2) | instskip(NEXT) | instid1(VALU_DEP_3)
	v_fmac_f32_e32 v41, v19, v12
	v_lshlrev_b32_e32 v1, 3, v2
	s_clause 0x1
	global_load_b128 v[4:7], v0, s[10:11]
	global_load_b128 v[0:3], v1, s[10:11]
	v_and_b32_e32 v42, 0xffff, v42
	v_fma_f32 v18, v18, v12, -v40
	v_fmac_f32_e32 v43, v25, v14
	s_wait_loadcnt_dscnt 0x201
	v_mul_f32_e32 v19, v29, v9
	v_mul_f32_e32 v40, v28, v9
	global_wb scope:SCOPE_SE
	s_wait_loadcnt_dscnt 0x0
	v_add_f32_e32 v56, v20, v18
	s_barrier_signal -1
	v_fma_f32 v28, v28, v8, -v19
	s_barrier_wait -1
	global_inv scope:SCOPE_SE
	v_mul_f32_e32 v47, v34, v7
	v_dual_mul_f32 v51, v38, v3 :: v_dual_lshlrev_b32 v120, 3, v42
	v_mul_f32_e32 v42, v25, v15
	s_delay_alu instid0(VALU_DEP_3) | instskip(SKIP_2) | instid1(VALU_DEP_4)
	v_dual_sub_f32 v58, v41, v43 :: v_dual_fmac_f32 v47, v35, v6
	v_mul_f32_e32 v25, v27, v11
	v_mul_f32_e32 v45, v30, v5
	v_fma_f32 v24, v24, v14, -v42
	v_dual_mul_f32 v42, v26, v11 :: v_dual_add_f32 v59, v21, v41
	v_add_f32_e32 v41, v41, v43
	v_mul_f32_e32 v46, v35, v7
	s_delay_alu instid0(VALU_DEP_4)
	v_sub_f32_e32 v62, v18, v24
	v_dual_mul_f32 v48, v37, v1 :: v_dual_fmac_f32 v45, v31, v4
	v_mul_f32_e32 v49, v36, v1
	v_mul_f32_e32 v44, v31, v5
	v_dual_mul_f32 v50, v39, v3 :: v_dual_add_f32 v57, v18, v24
	v_dual_fmac_f32 v40, v29, v8 :: v_dual_fmac_f32 v51, v39, v2
	v_fma_f32 v19, -0.5, v41, v21
	v_fmac_f32_e32 v42, v27, v10
	v_fma_f32 v26, v26, v10, -v25
	v_fma_f32 v29, v34, v6, -v46
	v_fmac_f32_e32 v49, v37, v0
	v_fmamk_f32 v25, v62, 0xbf5db3d7, v19
	v_fma_f32 v27, v30, v4, -v44
	v_fma_f32 v30, v36, v0, -v48
	;; [unrolled: 1-line block ×3, first 2 shown]
	v_fma_f32 v18, -0.5, v57, v20
	v_add_f32_e32 v38, v40, v42
	v_dual_add_f32 v20, v56, v24 :: v_dual_add_f32 v21, v59, v43
	v_dual_add_f32 v34, v22, v28 :: v_dual_add_f32 v35, v28, v26
	s_delay_alu instid0(VALU_DEP_4)
	v_dual_fmamk_f32 v24, v58, 0x3f5db3d7, v18 :: v_dual_fmac_f32 v19, 0x3f5db3d7, v62
	v_dual_fmac_f32 v18, 0xbf5db3d7, v58 :: v_dual_add_f32 v37, v23, v40
	v_dual_sub_f32 v36, v40, v42 :: v_dual_sub_f32 v41, v45, v47
	v_dual_sub_f32 v39, v28, v26 :: v_dual_add_f32 v40, v27, v29
	v_add_f32_e32 v43, v17, v45
	v_dual_add_f32 v44, v45, v47 :: v_dual_fmac_f32 v23, -0.5, v38
	v_dual_add_f32 v46, v32, v30 :: v_dual_add_f32 v57, v33, v49
	v_add_f32_e32 v48, v30, v31
	s_delay_alu instid0(VALU_DEP_3) | instskip(SKIP_2) | instid1(VALU_DEP_2)
	v_dual_sub_f32 v50, v49, v51 :: v_dual_fmac_f32 v17, -0.5, v44
	v_dual_add_f32 v49, v49, v51 :: v_dual_add_f32 v26, v34, v26
	v_dual_add_f32 v28, v16, v27 :: v_dual_sub_f32 v45, v27, v29
	v_dual_sub_f32 v30, v30, v31 :: v_dual_fmac_f32 v33, -0.5, v49
	v_fma_f32 v22, -0.5, v35, v22
	v_add_f32_e32 v27, v37, v42
	v_fma_f32 v16, -0.5, v40, v16
	v_dual_fmac_f32 v32, -0.5, v48 :: v_dual_add_f32 v57, v57, v51
	v_add_f32_e32 v56, v46, v31
	ds_store_2addr_b64 v122, v[20:21], v[24:25] offset1:10
	ds_store_b64 v122, v[18:19] offset:160
	v_fmamk_f32 v19, v39, 0xbf5db3d7, v23
	v_dual_fmamk_f32 v18, v36, 0x3f5db3d7, v22 :: v_dual_fmac_f32 v23, 0x3f5db3d7, v39
	v_fmamk_f32 v20, v41, 0x3f5db3d7, v16
	v_dual_fmac_f32 v16, 0xbf5db3d7, v41 :: v_dual_fmamk_f32 v35, v30, 0xbf5db3d7, v33
	v_dual_fmamk_f32 v34, v50, 0x3f5db3d7, v32 :: v_dual_fmac_f32 v33, 0x3f5db3d7, v30
	v_fmac_f32_e32 v32, 0xbf5db3d7, v50
	v_dual_fmac_f32 v22, 0xbf5db3d7, v36 :: v_dual_fmamk_f32 v21, v45, 0xbf5db3d7, v17
	v_dual_add_f32 v28, v28, v29 :: v_dual_add_f32 v29, v43, v47
	v_fmac_f32_e32 v17, 0x3f5db3d7, v45
	ds_store_2addr_b64 v121, v[26:27], v[18:19] offset1:10
	ds_store_b64 v121, v[22:23] offset:160
	ds_store_2addr_b64 v120, v[28:29], v[20:21] offset1:10
	ds_store_b64 v120, v[16:17] offset:160
	s_and_saveexec_b32 s0, vcc_lo
	s_cbranch_execz .LBB0_5
; %bb.4:
	v_mad_u16 v16, v118, 30, v119
	s_delay_alu instid0(VALU_DEP_1) | instskip(NEXT) | instid1(VALU_DEP_1)
	v_and_b32_e32 v16, 0xffff, v16
	v_lshlrev_b32_e32 v16, 3, v16
	ds_store_2addr_b64 v16, v[56:57], v[34:35] offset1:10
	ds_store_b64 v16, v[32:33] offset:160
.LBB0_5:
	s_wait_alu 0xfffe
	s_or_b32 exec_lo, exec_lo, s0
	v_add_nc_u32_e32 v16, 0xa00, v116
	v_add_nc_u32_e32 v17, 0x2000, v116
	;; [unrolled: 1-line block ×3, first 2 shown]
	global_wb scope:SCOPE_SE
	s_wait_dscnt 0x0
	s_barrier_signal -1
	s_barrier_wait -1
	global_inv scope:SCOPE_SE
	ds_load_2addr_b64 v[40:43], v116 offset1:162
	ds_load_2addr_b64 v[36:39], v16 offset0:4 offset1:220
	ds_load_2addr_b64 v[48:51], v17 offset0:56 offset1:218
	;; [unrolled: 1-line block ×3, first 2 shown]
	ds_load_b64 v[58:59], v116 offset:11232
	s_and_saveexec_b32 s0, vcc_lo
	s_cbranch_execz .LBB0_7
; %bb.6:
	ds_load_b64 v[56:57], v116 offset:3888
	ds_load_b64 v[34:35], v116 offset:8208
	;; [unrolled: 1-line block ×3, first 2 shown]
.LBB0_7:
	s_wait_alu 0xfffe
	s_or_b32 exec_lo, exec_lo, s0
	v_and_b32_e32 v16, 0xff, v115
	v_mul_u32_u24_e32 v17, 0x8889, v76
	v_mul_u32_u24_e32 v19, 0x8889, v61
	;; [unrolled: 1-line block ×3, first 2 shown]
	s_delay_alu instid0(VALU_DEP_4) | instskip(NEXT) | instid1(VALU_DEP_4)
	v_mul_lo_u16 v16, 0x89, v16
	v_lshrrev_b32_e32 v60, 20, v17
	s_delay_alu instid0(VALU_DEP_4) | instskip(NEXT) | instid1(VALU_DEP_4)
	v_lshrrev_b32_e32 v62, 20, v19
	v_lshrrev_b32_e32 v61, 20, v18
	s_delay_alu instid0(VALU_DEP_4) | instskip(NEXT) | instid1(VALU_DEP_4)
	v_lshrrev_b16 v63, 12, v16
	v_mul_lo_u16 v16, v60, 30
	s_delay_alu instid0(VALU_DEP_4) | instskip(NEXT) | instid1(VALU_DEP_4)
	v_mul_lo_u16 v18, v62, 30
	v_mul_lo_u16 v17, v61, 30
	s_delay_alu instid0(VALU_DEP_4) | instskip(NEXT) | instid1(VALU_DEP_4)
	v_mul_lo_u16 v19, v63, 30
	v_sub_nc_u16 v64, v54, v16
	s_delay_alu instid0(VALU_DEP_4) | instskip(NEXT) | instid1(VALU_DEP_4)
	v_sub_nc_u16 v66, v129, v18
	v_sub_nc_u16 v65, v52, v17
	s_delay_alu instid0(VALU_DEP_4) | instskip(NEXT) | instid1(VALU_DEP_4)
	v_sub_nc_u16 v16, v115, v19
	v_lshlrev_b16 v17, 4, v64
	s_delay_alu instid0(VALU_DEP_4) | instskip(NEXT) | instid1(VALU_DEP_4)
	v_lshlrev_b16 v19, 4, v66
	v_lshlrev_b16 v18, 4, v65
	v_mad_u16 v61, 0x5a, v61, v65
	v_and_b32_e32 v67, 0xff, v16
	v_mad_u16 v60, 0x5a, v60, v64
	v_and_b32_e32 v20, 0xffff, v19
	v_mad_u16 v123, 0x5a, v62, v66
	s_delay_alu instid0(VALU_DEP_4) | instskip(SKIP_2) | instid1(VALU_DEP_1)
	v_lshlrev_b32_e32 v19, 4, v67
	global_load_b128 v[28:31], v19, s[10:11] offset:160
	v_and_b32_e32 v16, 0xffff, v17
	v_add_co_u32 v16, s0, s10, v16
	s_wait_alu 0xf1ff
	v_add_co_ci_u32_e64 v17, null, s11, 0, s0
	global_load_b128 v[24:27], v[16:17], off offset:160
	v_and_b32_e32 v18, 0xffff, v18
	v_and_b32_e32 v60, 0xffff, v60
	;; [unrolled: 1-line block ×3, first 2 shown]
	s_wait_loadcnt_dscnt 0x103
	s_delay_alu instid0(VALU_DEP_2)
	v_dual_mul_f32 v60, v39, v29 :: v_dual_lshlrev_b32 v125, 3, v60
	s_wait_dscnt 0x2
	v_mul_f32_e32 v62, v49, v31
	s_wait_loadcnt_dscnt 0x1
	v_dual_mul_f32 v66, v51, v27 :: v_dual_mul_f32 v65, v44, v25
	v_add_co_u32 v18, s0, s10, v18
	s_wait_alu 0xf1ff
	v_add_co_ci_u32_e64 v19, null, s11, 0, s0
	v_add_co_u32 v16, s0, s10, v20
	s_wait_alu 0xf1ff
	v_add_co_ci_u32_e64 v17, null, s11, 0, s0
	s_clause 0x1
	global_load_b128 v[20:23], v[18:19], off offset:160
	global_load_b128 v[16:19], v[16:17], off offset:160
	v_and_b32_e32 v63, 0xffff, v63
	v_lshlrev_b32_e32 v124, 3, v61
	v_mul_f32_e32 v61, v38, v29
	v_mul_f32_e32 v64, v45, v25
	v_fma_f32 v38, v38, v28, -v60
	v_fmac_f32_e32 v65, v45, v24
	v_fma_f32 v45, v50, v26, -v66
	global_wb scope:SCOPE_SE
	s_wait_loadcnt_dscnt 0x0
	v_fma_f32 v44, v44, v24, -v64
	s_barrier_signal -1
	s_barrier_wait -1
	global_inv scope:SCOPE_SE
	v_fmac_f32_e32 v61, v39, v28
	v_fma_f32 v39, v48, v30, -v62
	v_sub_f32_e32 v62, v44, v45
	v_mul_f32_e32 v68, v47, v21
	v_mul_u32_u24_e32 v63, 0x5a, v63
	v_dual_mul_f32 v69, v46, v21 :: v_dual_mul_f32 v70, v59, v23
	v_mul_f32_e32 v73, v34, v17
	v_mul_f32_e32 v71, v58, v23
	s_delay_alu instid0(VALU_DEP_4) | instskip(SKIP_4) | instid1(VALU_DEP_4)
	v_add_lshl_u32 v126, v63, v67, 3
	v_mul_f32_e32 v63, v48, v31
	v_dual_mul_f32 v67, v50, v27 :: v_dual_mul_f32 v72, v35, v17
	v_mul_f32_e32 v75, v32, v19
	v_mul_f32_e32 v74, v33, v19
	v_fmac_f32_e32 v63, v49, v30
	s_delay_alu instid0(VALU_DEP_4)
	v_fmac_f32_e32 v67, v51, v26
	v_fma_f32 v46, v46, v20, -v68
	v_fmac_f32_e32 v69, v47, v20
	v_fma_f32 v47, v58, v22, -v70
	v_dual_add_f32 v58, v44, v45 :: v_dual_fmac_f32 v71, v59, v22
	v_fma_f32 v34, v34, v16, -v72
	v_fmac_f32_e32 v73, v35, v16
	v_fma_f32 v48, v32, v18, -v74
	v_add_f32_e32 v32, v40, v38
	v_dual_fmac_f32 v75, v33, v18 :: v_dual_add_f32 v60, v43, v65
	v_dual_add_f32 v33, v38, v39 :: v_dual_add_f32 v66, v37, v69
	v_sub_f32_e32 v51, v38, v39
	v_dual_add_f32 v38, v42, v44 :: v_dual_sub_f32 v49, v61, v63
	v_dual_add_f32 v35, v41, v61 :: v_dual_add_f32 v64, v46, v47
	v_add_f32_e32 v50, v61, v63
	v_dual_sub_f32 v59, v65, v67 :: v_dual_add_f32 v70, v34, v48
	v_dual_add_f32 v61, v65, v67 :: v_dual_add_f32 v44, v36, v46
	v_sub_f32_e32 v65, v69, v71
	v_dual_add_f32 v68, v69, v71 :: v_dual_sub_f32 v77, v34, v48
	v_dual_sub_f32 v69, v46, v47 :: v_dual_add_f32 v46, v56, v34
	v_fmac_f32_e32 v56, -0.5, v70
	v_add_f32_e32 v74, v57, v73
	v_fma_f32 v34, -0.5, v33, v40
	v_add_f32_e32 v40, v38, v45
	v_dual_sub_f32 v72, v73, v75 :: v_dual_fmac_f32 v43, -0.5, v61
	v_add_f32_e32 v73, v73, v75
	v_dual_add_f32 v32, v32, v39 :: v_dual_fmac_f32 v37, -0.5, v68
	v_add_f32_e32 v33, v35, v63
	v_fma_f32 v35, -0.5, v50, v41
	v_add_f32_e32 v38, v44, v47
	v_fma_f32 v36, -0.5, v64, v36
	v_fmamk_f32 v44, v49, 0x3f5db3d7, v34
	v_fmac_f32_e32 v34, 0xbf5db3d7, v49
	v_fmac_f32_e32 v57, -0.5, v73
	v_fma_f32 v42, -0.5, v58, v42
	v_dual_add_f32 v41, v60, v67 :: v_dual_add_f32 v60, v46, v48
	v_add_f32_e32 v39, v66, v71
	v_add_f32_e32 v61, v74, v75
	v_fmamk_f32 v45, v51, 0xbf5db3d7, v35
	v_dual_fmac_f32 v35, 0x3f5db3d7, v51 :: v_dual_fmamk_f32 v64, v72, 0x3f5db3d7, v56
	v_dual_fmamk_f32 v47, v62, 0xbf5db3d7, v43 :: v_dual_fmac_f32 v56, 0xbf5db3d7, v72
	v_dual_fmac_f32 v43, 0x3f5db3d7, v62 :: v_dual_fmamk_f32 v62, v65, 0x3f5db3d7, v36
	v_dual_fmac_f32 v36, 0xbf5db3d7, v65 :: v_dual_fmamk_f32 v63, v69, 0xbf5db3d7, v37
	v_fmac_f32_e32 v37, 0x3f5db3d7, v69
	v_fmamk_f32 v65, v77, 0xbf5db3d7, v57
	v_dual_fmac_f32 v57, 0x3f5db3d7, v77 :: v_dual_fmamk_f32 v46, v59, 0x3f5db3d7, v42
	v_fmac_f32_e32 v42, 0xbf5db3d7, v59
	ds_store_2addr_b64 v126, v[32:33], v[44:45] offset1:30
	ds_store_b64 v126, v[34:35] offset:480
	ds_store_2addr_b64 v125, v[40:41], v[46:47] offset1:30
	ds_store_b64 v125, v[42:43] offset:480
	;; [unrolled: 2-line block ×3, first 2 shown]
	s_and_saveexec_b32 s0, vcc_lo
	s_cbranch_execz .LBB0_9
; %bb.8:
	v_and_b32_e32 v32, 0xffff, v123
	s_delay_alu instid0(VALU_DEP_1)
	v_lshlrev_b32_e32 v32, 3, v32
	ds_store_2addr_b64 v32, v[60:61], v[64:65] offset1:30
	ds_store_b64 v32, v[56:57] offset:480
.LBB0_9:
	s_wait_alu 0xfffe
	s_or_b32 exec_lo, exec_lo, s0
	global_wb scope:SCOPE_SE
	s_wait_dscnt 0x0
	s_barrier_signal -1
	s_barrier_wait -1
	global_inv scope:SCOPE_SE
	ds_load_b64 v[58:59], v116
	ds_load_b64 v[74:75], v116 offset:2160
	ds_load_b64 v[72:73], v116 offset:4320
	;; [unrolled: 1-line block ×5, first 2 shown]
	v_cmp_gt_u16_e64 s0, 0x6c, v115
	s_delay_alu instid0(VALU_DEP_1)
	s_and_saveexec_b32 s1, s0
	s_cbranch_execz .LBB0_11
; %bb.10:
	ds_load_b64 v[38:39], v116 offset:1296
	ds_load_b64 v[62:63], v116 offset:3456
	;; [unrolled: 1-line block ×6, first 2 shown]
.LBB0_11:
	s_wait_alu 0xfffe
	s_or_b32 exec_lo, exec_lo, s1
	v_add_nc_u32_e32 v32, 0xffffffa6, v115
	v_cmp_gt_u16_e64 s1, 0x5a, v115
	v_mul_u32_u24_e32 v34, 0x2d83, v76
	s_wait_alu 0xf1ff
	s_delay_alu instid0(VALU_DEP_2) | instskip(NEXT) | instid1(VALU_DEP_2)
	v_cndmask_b32_e64 v78, v32, v115, s1
	v_lshrrev_b32_e32 v79, 20, v34
	s_delay_alu instid0(VALU_DEP_2) | instskip(SKIP_1) | instid1(VALU_DEP_3)
	v_mul_i32_i24_e32 v32, 40, v78
	v_mul_hi_i32_i24_e32 v33, 40, v78
	v_mul_lo_u16 v34, 0x5a, v79
	s_delay_alu instid0(VALU_DEP_3) | instskip(SKIP_1) | instid1(VALU_DEP_3)
	v_add_co_u32 v32, s1, s10, v32
	s_wait_alu 0xf1ff
	v_add_co_ci_u32_e64 v33, s1, s11, v33, s1
	s_delay_alu instid0(VALU_DEP_3)
	v_sub_nc_u16 v82, v54, v34
	s_clause 0x2
	global_load_b128 v[48:51], v[32:33], off offset:640
	global_load_b128 v[44:47], v[32:33], off offset:656
	global_load_b64 v[107:108], v[32:33], off offset:672
	v_mul_lo_u16 v32, v82, 40
	s_wait_loadcnt_dscnt 0x203
	s_delay_alu instid0(VALU_DEP_1) | instskip(NEXT) | instid1(VALU_DEP_1)
	v_dual_mul_f32 v81, v73, v51 :: v_dual_and_b32 v32, 0xffff, v32
	v_add_co_u32 v76, s1, s10, v32
	s_wait_alu 0xf1ff
	v_add_co_ci_u32_e64 v77, null, s11, 0, s1
	v_cmp_lt_u16_e64 s1, 0x59, v115
	s_clause 0x2
	global_load_b128 v[40:43], v[76:77], off offset:640
	global_load_b128 v[32:35], v[76:77], off offset:656
	global_load_b64 v[105:106], v[76:77], off offset:672
	v_dual_mul_f32 v80, v74, v49 :: v_dual_mul_f32 v83, v72, v51
	s_wait_alu 0xf1ff
	v_cndmask_b32_e64 v76, 0, 0x21c, s1
	s_wait_loadcnt_dscnt 0x402
	v_mul_f32_e32 v109, v71, v45
	s_wait_dscnt 0x1
	v_dual_mul_f32 v110, v70, v45 :: v_dual_mul_f32 v111, v69, v47
	v_dual_mul_f32 v112, v68, v47 :: v_dual_fmac_f32 v83, v73, v50
	v_add_lshl_u32 v127, v78, v76, 3
	s_wait_loadcnt_dscnt 0x300
	v_mul_f32_e32 v113, v67, v108
	v_mul_f32_e32 v114, v66, v108
	;; [unrolled: 1-line block ×3, first 2 shown]
	v_add_f32_e32 v73, v59, v83
	v_add_nc_u32_e32 v76, 0x400, v127
	v_add_nc_u32_e32 v77, 0x800, v127
	v_fma_f32 v72, v72, v50, -v81
	v_fma_f32 v70, v70, v44, -v109
	v_fmac_f32_e32 v110, v71, v44
	v_fma_f32 v68, v68, v46, -v111
	v_fmac_f32_e32 v112, v69, v46
	;; [unrolled: 2-line block ×3, first 2 shown]
	s_delay_alu instid0(VALU_DEP_4)
	v_dual_fmac_f32 v114, v67, v107 :: v_dual_add_f32 v69, v72, v68
	v_fma_f32 v74, v74, v48, -v78
	v_add_f32_e32 v67, v58, v72
	v_sub_f32_e32 v71, v83, v112
	v_add_f32_e32 v81, v70, v66
	v_fma_f32 v58, -0.5, v69, v58
	v_add_f32_e32 v78, v74, v70
	v_dual_sub_f32 v70, v70, v66 :: v_dual_add_f32 v67, v67, v68
	global_wb scope:SCOPE_SE
	s_wait_loadcnt 0x0
	s_barrier_signal -1
	v_add_f32_e32 v66, v78, v66
	s_barrier_wait -1
	global_inv scope:SCOPE_SE
	v_fmac_f32_e32 v74, -0.5, v81
	v_mul_f32_e32 v113, v62, v41
	v_add_f32_e32 v75, v83, v112
	v_dual_sub_f32 v72, v72, v68 :: v_dual_sub_f32 v83, v110, v114
	v_dual_add_f32 v109, v80, v110 :: v_dual_mul_f32 v128, v37, v43
	v_dual_add_f32 v110, v110, v114 :: v_dual_mul_f32 v111, v63, v41
	v_dual_mul_f32 v131, v36, v43 :: v_dual_mul_f32 v132, v61, v33
	v_dual_mul_f32 v133, v60, v33 :: v_dual_mul_f32 v134, v65, v35
	;; [unrolled: 1-line block ×3, first 2 shown]
	v_dual_mul_f32 v137, v56, v106 :: v_dual_add_f32 v68, v73, v112
	v_dual_fmac_f32 v59, -0.5, v75 :: v_dual_fmac_f32 v80, -0.5, v110
	v_fmac_f32_e32 v113, v63, v40
	v_add_f32_e32 v69, v109, v114
	v_fma_f32 v78, v62, v40, -v111
	v_fmamk_f32 v62, v71, 0x3f5db3d7, v58
	v_fma_f32 v36, v36, v42, -v128
	v_dual_fmac_f32 v131, v37, v42 :: v_dual_fmac_f32 v58, 0xbf5db3d7, v71
	v_fma_f32 v37, v60, v32, -v132
	v_fmac_f32_e32 v133, v61, v32
	v_fma_f32 v60, v64, v34, -v134
	v_fmac_f32_e32 v135, v65, v34
	v_fma_f32 v61, v56, v105, -v136
	v_dual_fmac_f32 v137, v57, v105 :: v_dual_fmamk_f32 v56, v83, 0x3f5db3d7, v74
	v_fmac_f32_e32 v74, 0xbf5db3d7, v83
	v_fmamk_f32 v57, v70, 0xbf5db3d7, v80
	v_dual_fmamk_f32 v63, v72, 0xbf5db3d7, v59 :: v_dual_add_f32 v64, v67, v66
	v_dual_fmac_f32 v59, 0x3f5db3d7, v72 :: v_dual_sub_f32 v66, v67, v66
	v_dual_fmac_f32 v80, 0x3f5db3d7, v70 :: v_dual_add_f32 v65, v68, v69
	v_mul_f32_e32 v73, -0.5, v74
	v_dual_sub_f32 v83, v131, v135 :: v_dual_add_f32 v128, v133, v137
	v_add_f32_e32 v70, v39, v131
	v_mul_f32_e32 v72, 0x3f5db3d7, v57
	v_sub_f32_e32 v67, v68, v69
	v_dual_add_f32 v69, v36, v60 :: v_dual_add_f32 v114, v113, v133
	v_dual_mul_f32 v75, 0xbf5db3d7, v56 :: v_dual_add_f32 v110, v78, v37
	v_dual_mul_f32 v81, -0.5, v80 :: v_dual_sub_f32 v112, v133, v137
	v_dual_add_f32 v68, v38, v36 :: v_dual_add_f32 v71, v131, v135
	s_delay_alu instid0(VALU_DEP_4)
	v_dual_sub_f32 v109, v36, v60 :: v_dual_fmac_f32 v38, -0.5, v69
	v_dual_add_f32 v111, v37, v61 :: v_dual_fmac_f32 v72, 0.5, v56
	v_dual_add_f32 v56, v70, v135 :: v_dual_sub_f32 v131, v37, v61
	v_fmac_f32_e32 v73, 0x3f5db3d7, v80
	v_fmac_f32_e32 v113, -0.5, v128
	v_fmac_f32_e32 v75, 0.5, v57
	v_dual_fmac_f32 v81, 0xbf5db3d7, v74 :: v_dual_add_f32 v36, v68, v60
	s_delay_alu instid0(VALU_DEP_4) | instskip(SKIP_4) | instid1(VALU_DEP_4)
	v_dual_add_f32 v70, v58, v73 :: v_dual_fmac_f32 v39, -0.5, v71
	v_dual_add_f32 v37, v110, v61 :: v_dual_fmac_f32 v78, -0.5, v111
	v_sub_f32_e32 v74, v58, v73
	v_fmamk_f32 v58, v83, 0x3f5db3d7, v38
	v_dual_fmac_f32 v38, 0xbf5db3d7, v83 :: v_dual_fmamk_f32 v83, v131, 0xbf5db3d7, v113
	v_dual_sub_f32 v80, v36, v37 :: v_dual_fmac_f32 v113, 0x3f5db3d7, v131
	v_add_f32_e32 v57, v114, v137
	v_dual_add_f32 v68, v62, v72 :: v_dual_add_f32 v71, v59, v81
	v_dual_sub_f32 v72, v62, v72 :: v_dual_add_f32 v69, v63, v75
	v_dual_fmamk_f32 v60, v109, 0xbf5db3d7, v39 :: v_dual_sub_f32 v73, v63, v75
	v_sub_f32_e32 v75, v59, v81
	v_fmac_f32_e32 v39, 0x3f5db3d7, v109
	v_fmamk_f32 v81, v112, 0x3f5db3d7, v78
	v_dual_fmac_f32 v78, 0xbf5db3d7, v112 :: v_dual_mul_f32 v63, -0.5, v113
	v_mul_f32_e32 v59, 0x3f5db3d7, v83
	v_mad_u16 v128, 0x21c, v79, v82
	s_delay_alu instid0(VALU_DEP_3) | instskip(NEXT) | instid1(VALU_DEP_4)
	v_mul_f32_e32 v61, -0.5, v78
	v_fmac_f32_e32 v63, 0xbf5db3d7, v78
	s_delay_alu instid0(VALU_DEP_1) | instskip(SKIP_3) | instid1(VALU_DEP_3)
	v_dual_fmac_f32 v61, 0x3f5db3d7, v113 :: v_dual_sub_f32 v112, v39, v63
	v_mul_f32_e32 v62, 0xbf5db3d7, v81
	v_fmac_f32_e32 v59, 0.5, v81
	v_sub_f32_e32 v81, v56, v57
	v_dual_sub_f32 v111, v38, v61 :: v_dual_fmac_f32 v62, 0.5, v83
	s_delay_alu instid0(VALU_DEP_1)
	v_dual_sub_f32 v109, v58, v59 :: v_dual_sub_f32 v110, v60, v62
	ds_store_2addr_b64 v127, v[64:65], v[68:69] offset1:90
	ds_store_2addr_b64 v76, v[70:71], v[66:67] offset0:52 offset1:142
	ds_store_2addr_b64 v77, v[72:73], v[74:75] offset0:104 offset1:194
	s_and_saveexec_b32 s1, s0
	s_cbranch_execz .LBB0_13
; %bb.12:
	v_dual_add_f32 v39, v39, v63 :: v_dual_and_b32 v64, 0xffff, v128
	v_dual_add_f32 v60, v60, v62 :: v_dual_add_f32 v59, v58, v59
	s_delay_alu instid0(VALU_DEP_2) | instskip(SKIP_1) | instid1(VALU_DEP_2)
	v_dual_add_f32 v57, v56, v57 :: v_dual_lshlrev_b32 v62, 3, v64
	v_add_f32_e32 v56, v36, v37
	v_dual_add_f32 v38, v38, v61 :: v_dual_add_nc_u32 v37, 0x800, v62
	v_add_nc_u32_e32 v36, 0x400, v62
	ds_store_2addr_b64 v62, v[56:57], v[59:60] offset1:90
	ds_store_2addr_b64 v36, v[38:39], v[80:81] offset0:52 offset1:142
	ds_store_2addr_b64 v37, v[109:110], v[111:112] offset0:104 offset1:194
.LBB0_13:
	s_wait_alu 0xfffe
	s_or_b32 exec_lo, exec_lo, s1
	v_add_nc_u32_e32 v36, 0xa00, v116
	v_add_nc_u32_e32 v37, 0x2000, v116
	;; [unrolled: 1-line block ×3, first 2 shown]
	global_wb scope:SCOPE_SE
	s_wait_dscnt 0x0
	s_barrier_signal -1
	s_barrier_wait -1
	global_inv scope:SCOPE_SE
	ds_load_2addr_b64 v[68:71], v116 offset1:162
	ds_load_2addr_b64 v[64:67], v36 offset0:4 offset1:220
	ds_load_2addr_b64 v[76:79], v37 offset0:56 offset1:218
	;; [unrolled: 1-line block ×3, first 2 shown]
	ds_load_b64 v[113:114], v116 offset:11232
	v_add_co_u32 v82, s1, s8, v116
	s_wait_alu 0xf1ff
	v_add_co_ci_u32_e64 v83, null, s9, 0, s1
	s_and_saveexec_b32 s1, vcc_lo
	s_cbranch_execz .LBB0_15
; %bb.14:
	ds_load_b64 v[80:81], v116 offset:3888
	ds_load_b64 v[109:110], v116 offset:8208
	;; [unrolled: 1-line block ×3, first 2 shown]
.LBB0_15:
	s_wait_alu 0xfffe
	s_or_b32 exec_lo, exec_lo, s1
	v_lshlrev_b32_e32 v56, 4, v115
	v_lshlrev_b64_e32 v[36:37], 4, v[54:55]
	v_lshlrev_b64_e32 v[38:39], 4, v[52:53]
	global_load_b128 v[60:63], v56, s[10:11] offset:4240
	v_add_co_u32 v36, s1, s10, v36
	s_wait_alu 0xf1ff
	v_add_co_ci_u32_e64 v37, s1, s11, v37, s1
	v_add_co_u32 v38, s1, s10, v38
	s_wait_alu 0xf1ff
	v_add_co_ci_u32_e64 v39, s1, s11, v39, s1
	global_load_b128 v[52:55], v[36:37], off offset:4240
	v_add_co_u32 v36, s1, 0xffffffca, v115
	s_wait_alu 0xf1ff
	v_add_co_ci_u32_e64 v37, null, 0, -1, s1
	global_load_b128 v[56:59], v[38:39], off offset:4240
	s_wait_loadcnt_dscnt 0x203
	v_dual_cndmask_b32 v37, v37, v130 :: v_dual_mul_f32 v130, v66, v61
	s_wait_dscnt 0x2
	v_mul_f32_e32 v133, v76, v63
	v_cndmask_b32_e32 v36, v36, v129, vcc_lo
	v_dual_mul_f32 v129, v67, v61 :: v_dual_mul_f32 v132, v77, v63
	s_delay_alu instid0(VALU_DEP_3) | instskip(NEXT) | instid1(VALU_DEP_3)
	v_dual_fmac_f32 v130, v67, v60 :: v_dual_fmac_f32 v133, v77, v62
	v_lshlrev_b64_e32 v[36:37], 4, v[36:37]
	s_delay_alu instid0(VALU_DEP_3) | instskip(NEXT) | instid1(VALU_DEP_4)
	v_fma_f32 v66, v66, v60, -v129
	v_fma_f32 v67, v76, v62, -v132
	s_wait_loadcnt_dscnt 0x101
	v_dual_mul_f32 v77, v72, v53 :: v_dual_mul_f32 v132, v78, v55
	v_add_f32_e32 v141, v69, v130
	v_add_co_u32 v36, s1, s10, v36
	s_wait_alu 0xf1ff
	v_add_co_ci_u32_e64 v37, s1, s11, v37, s1
	v_dual_mul_f32 v76, v73, v53 :: v_dual_mul_f32 v129, v79, v55
	s_wait_loadcnt_dscnt 0x0
	v_dual_mul_f32 v134, v75, v57 :: v_dual_mul_f32 v137, v113, v59
	global_load_b128 v[36:39], v[36:37], off offset:4240
	v_dual_mul_f32 v135, v74, v57 :: v_dual_add_f32 v138, v68, v66
	v_dual_mul_f32 v136, v114, v59 :: v_dual_fmac_f32 v77, v73, v52
	v_dual_add_f32 v139, v66, v67 :: v_dual_fmac_f32 v132, v79, v54
	s_delay_alu instid0(VALU_DEP_3)
	v_dual_sub_f32 v140, v130, v133 :: v_dual_fmac_f32 v135, v75, v56
	v_add_f32_e32 v130, v130, v133
	v_dual_sub_f32 v142, v66, v67 :: v_dual_add_f32 v73, v141, v133
	v_fma_f32 v76, v72, v52, -v76
	v_fma_f32 v78, v78, v54, -v129
	;; [unrolled: 1-line block ×4, first 2 shown]
	v_fmac_f32_e32 v137, v114, v58
	v_add_f32_e32 v72, v138, v67
	v_fma_f32 v74, -0.5, v139, v68
	v_fma_f32 v75, -0.5, v130, v69
	v_dual_add_f32 v114, v70, v76 :: v_dual_add_f32 v133, v71, v77
	v_dual_sub_f32 v130, v77, v132 :: v_dual_add_f32 v139, v79, v113
	v_dual_sub_f32 v136, v76, v78 :: v_dual_add_f32 v143, v65, v135
	;; [unrolled: 1-line block ×3, first 2 shown]
	v_fmamk_f32 v76, v140, 0x3f5db3d7, v74
	v_add_f32_e32 v78, v114, v78
	s_delay_alu instid0(VALU_DEP_3)
	v_fma_f32 v70, -0.5, v129, v70
	s_wait_loadcnt 0x0
	v_mul_f32_e32 v68, v110, v37
	v_mul_f32_e32 v67, v109, v37
	;; [unrolled: 1-line block ×4, first 2 shown]
	v_dual_add_f32 v134, v77, v132 :: v_dual_sub_f32 v141, v135, v137
	v_dual_fmac_f32 v74, 0xbf5db3d7, v140 :: v_dual_fmamk_f32 v77, v142, 0xbf5db3d7, v75
	v_fma_f32 v68, v109, v36, -v68
	s_delay_alu instid0(VALU_DEP_3)
	v_fmac_f32_e32 v71, -0.5, v134
	v_dual_fmac_f32 v67, v110, v36 :: v_dual_fmac_f32 v66, v112, v38
	v_fma_f32 v69, v111, v38, -v69
	v_dual_fmac_f32 v75, 0x3f5db3d7, v142 :: v_dual_add_f32 v138, v64, v79
	v_add_f32_e32 v135, v135, v137
	v_fma_f32 v64, -0.5, v139, v64
	ds_store_b64 v116, v[76:77] offset:4320
	ds_store_b64 v116, v[74:75] offset:8640
	v_dual_fmamk_f32 v75, v136, 0xbf5db3d7, v71 :: v_dual_add_f32 v110, v67, v66
	v_dual_add_f32 v77, v68, v69 :: v_dual_fmamk_f32 v76, v141, 0x3f5db3d7, v64
	v_dual_add_f32 v114, v143, v137 :: v_dual_fmac_f32 v65, -0.5, v135
	v_dual_sub_f32 v112, v67, v66 :: v_dual_sub_f32 v129, v68, v69
	s_delay_alu instid0(VALU_DEP_3)
	v_fma_f32 v109, -0.5, v77, v80
	v_fma_f32 v110, -0.5, v110, v81
	v_dual_add_f32 v79, v133, v132 :: v_dual_fmac_f32 v64, 0xbf5db3d7, v141
	v_fmamk_f32 v77, v144, 0xbf5db3d7, v65
	v_fmac_f32_e32 v65, 0x3f5db3d7, v144
	v_fmamk_f32 v111, v112, 0x3f5db3d7, v109
	v_dual_fmac_f32 v109, 0xbf5db3d7, v112 :: v_dual_fmamk_f32 v112, v129, 0xbf5db3d7, v110
	v_fmac_f32_e32 v110, 0x3f5db3d7, v129
	v_add_f32_e32 v113, v138, v113
	v_dual_fmamk_f32 v74, v130, 0x3f5db3d7, v70 :: v_dual_fmac_f32 v71, 0x3f5db3d7, v136
	v_fmac_f32_e32 v70, 0xbf5db3d7, v130
	ds_store_2addr_b64 v116, v[72:73], v[78:79] offset1:162
	ds_store_b64 v116, v[70:71] offset:9936
	ds_store_b64 v116, v[113:114] offset:2592
	ds_store_2addr_b64 v131, v[74:75], v[76:77] offset0:62 offset1:224
	ds_store_b64 v116, v[64:65] offset:11232
	s_and_saveexec_b32 s1, vcc_lo
	s_cbranch_execz .LBB0_17
; %bb.16:
	v_dual_add_f32 v64, v81, v67 :: v_dual_add_f32 v67, v80, v68
	s_delay_alu instid0(VALU_DEP_1)
	v_dual_add_f32 v65, v64, v66 :: v_dual_add_f32 v64, v67, v69
	ds_store_b64 v116, v[64:65] offset:3888
	ds_store_b64 v116, v[111:112] offset:8208
	;; [unrolled: 1-line block ×3, first 2 shown]
.LBB0_17:
	s_wait_alu 0xfffe
	s_or_b32 exec_lo, exec_lo, s1
	s_add_nc_u64 s[8:9], s[8:9], 0x32a0
	global_wb scope:SCOPE_SE
	s_wait_dscnt 0x0
	s_barrier_signal -1
	s_barrier_wait -1
	global_inv scope:SCOPE_SE
	s_clause 0x9
	global_load_b64 v[68:69], v[82:83], off offset:12960
	global_load_b64 v[70:71], v116, s[8:9] offset:1296
	global_load_b64 v[80:81], v116, s[8:9] offset:2592
	;; [unrolled: 1-line block ×9, first 2 shown]
	ds_load_2addr_b64 v[64:67], v116 offset1:162
	s_wait_loadcnt_dscnt 0x900
	v_dual_mul_f32 v73, v65, v69 :: v_dual_add_nc_u32 v140, 0x800, v116
	s_wait_loadcnt 0x8
	v_mul_f32_e32 v74, v67, v71
	v_dual_mul_f32 v72, v64, v69 :: v_dual_mul_f32 v69, v66, v71
	s_delay_alu instid0(VALU_DEP_3) | instskip(NEXT) | instid1(VALU_DEP_2)
	v_fma_f32 v71, v64, v68, -v73
	v_dual_fmac_f32 v72, v65, v68 :: v_dual_fmac_f32 v69, v67, v70
	s_delay_alu instid0(VALU_DEP_4)
	v_fma_f32 v68, v66, v70, -v74
	ds_store_2addr_b64 v116, v[71:72], v[68:69] offset1:162
	ds_load_2addr_b64 v[64:67], v140 offset0:68 offset1:230
	v_add_nc_u32_e32 v141, 0x1400, v116
	s_wait_loadcnt_dscnt 0x600
	v_dual_mul_f32 v145, v67, v83 :: v_dual_add_nc_u32 v142, 0x1c00, v116
	v_mul_f32_e32 v144, v65, v81
	ds_load_2addr_b64 v[68:71], v141 offset0:8 offset1:170
	v_add_nc_u32_e32 v143, 0x2800, v116
	v_mul_f32_e32 v139, v64, v81
	s_delay_alu instid0(VALU_DEP_1)
	v_fmac_f32_e32 v139, v65, v80
	s_wait_loadcnt_dscnt 0x500
	v_mul_f32_e32 v146, v69, v114
	ds_load_2addr_b64 v[72:75], v142 offset0:76 offset1:238
	ds_load_2addr_b64 v[76:79], v143 offset0:16 offset1:178
	v_mul_f32_e32 v81, v66, v83
	v_mul_f32_e32 v83, v68, v114
	s_wait_loadcnt 0x4
	v_mul_f32_e32 v147, v71, v130
	v_mul_f32_e32 v114, v70, v130
	s_delay_alu instid0(VALU_DEP_1)
	v_fmac_f32_e32 v114, v71, v129
	s_wait_loadcnt_dscnt 0x301
	v_mul_f32_e32 v148, v73, v132
	s_wait_loadcnt 0x2
	v_dual_mul_f32 v130, v72, v132 :: v_dual_mul_f32 v149, v75, v134
	s_wait_loadcnt_dscnt 0x100
	v_mul_f32_e32 v150, v77, v136
	v_dual_mul_f32 v132, v74, v134 :: v_dual_fmac_f32 v83, v69, v113
	s_wait_loadcnt 0x0
	v_dual_mul_f32 v134, v76, v136 :: v_dual_mul_f32 v151, v79, v138
	v_fmac_f32_e32 v130, v73, v131
	v_mul_f32_e32 v136, v78, v138
	v_fma_f32 v138, v64, v80, -v144
	v_fma_f32 v80, v66, v82, -v145
	v_dual_fmac_f32 v81, v67, v82 :: v_dual_fmac_f32 v134, v77, v135
	v_fma_f32 v82, v68, v113, -v146
	v_fma_f32 v113, v70, v129, -v147
	;; [unrolled: 1-line block ×4, first 2 shown]
	v_fmac_f32_e32 v132, v75, v133
	v_fma_f32 v133, v76, v135, -v150
	v_fma_f32 v135, v78, v137, -v151
	v_fmac_f32_e32 v136, v79, v137
	ds_store_2addr_b64 v140, v[138:139], v[80:81] offset0:68 offset1:230
	ds_store_2addr_b64 v141, v[82:83], v[113:114] offset0:8 offset1:170
	;; [unrolled: 1-line block ×4, first 2 shown]
	global_wb scope:SCOPE_SE
	s_wait_dscnt 0x0
	s_barrier_signal -1
	s_barrier_wait -1
	global_inv scope:SCOPE_SE
	ds_load_2addr_b64 v[64:67], v116 offset1:162
	ds_load_2addr_b64 v[68:71], v140 offset0:68 offset1:230
	ds_load_2addr_b64 v[72:75], v141 offset0:8 offset1:170
	;; [unrolled: 1-line block ×4, first 2 shown]
	v_add_nc_u32_e32 v114, 0x2000, v116
	v_add_nc_u32_e32 v113, 0xa00, v116
	global_wb scope:SCOPE_SE
	s_wait_dscnt 0x0
	s_barrier_signal -1
	s_barrier_wait -1
	global_inv scope:SCOPE_SE
	v_dual_add_f32 v138, v65, v69 :: v_dual_add_f32 v129, v64, v68
	v_dual_add_f32 v147, v74, v78 :: v_dual_add_f32 v130, v72, v76
	v_add_f32_e32 v139, v73, v77
	v_sub_f32_e32 v131, v69, v81
	v_dual_sub_f32 v132, v73, v77 :: v_dual_sub_f32 v137, v76, v80
	v_sub_f32_e32 v133, v68, v72
	v_dual_sub_f32 v134, v80, v76 :: v_dual_sub_f32 v143, v81, v77
	v_add_f32_e32 v135, v68, v80
	v_sub_f32_e32 v136, v72, v68
	v_dual_sub_f32 v142, v69, v73 :: v_dual_sub_f32 v151, v82, v78
	v_dual_add_f32 v144, v69, v81 :: v_dual_sub_f32 v153, v74, v70
	v_dual_sub_f32 v69, v73, v69 :: v_dual_add_f32 v146, v66, v70
	v_dual_add_f32 v155, v67, v71 :: v_dual_add_f32 v152, v70, v82
	v_dual_sub_f32 v154, v78, v82 :: v_dual_sub_f32 v161, v79, v83
	v_add_f32_e32 v156, v75, v79
	v_dual_sub_f32 v158, v71, v75 :: v_dual_add_f32 v73, v138, v73
	v_add_f32_e32 v160, v71, v83
	v_dual_sub_f32 v68, v68, v80 :: v_dual_sub_f32 v145, v77, v81
	v_dual_sub_f32 v140, v72, v76 :: v_dual_sub_f32 v149, v75, v79
	;; [unrolled: 1-line block ×4, first 2 shown]
	v_dual_sub_f32 v71, v75, v71 :: v_dual_add_f32 v72, v129, v72
	v_fma_f32 v129, -0.5, v130, v64
	v_add_f32_e32 v130, v133, v134
	v_fma_f32 v64, -0.5, v135, v64
	v_add_f32_e32 v133, v136, v137
	v_add_f32_e32 v137, v150, v151
	v_fma_f32 v134, -0.5, v139, v65
	v_fma_f32 v65, -0.5, v144, v65
	v_dual_add_f32 v74, v146, v74 :: v_dual_add_f32 v75, v155, v75
	v_fma_f32 v136, -0.5, v147, v66
	v_fma_f32 v66, -0.5, v152, v66
	;; [unrolled: 1-line block ×3, first 2 shown]
	v_add_f32_e32 v73, v73, v77
	v_dual_add_f32 v138, v153, v154 :: v_dual_fmac_f32 v67, -0.5, v160
	v_dual_sub_f32 v70, v70, v82 :: v_dual_add_f32 v69, v69, v145
	v_dual_add_f32 v135, v142, v143 :: v_dual_add_f32 v72, v72, v76
	v_fmamk_f32 v143, v131, 0xbf737871, v129
	v_dual_fmac_f32 v129, 0x3f737871, v131 :: v_dual_fmamk_f32 v144, v132, 0x3f737871, v64
	v_dual_fmac_f32 v64, 0xbf737871, v132 :: v_dual_add_f32 v75, v75, v79
	v_dual_fmamk_f32 v145, v68, 0x3f737871, v134 :: v_dual_add_f32 v74, v74, v78
	v_fmac_f32_e32 v134, 0xbf737871, v68
	v_dual_fmamk_f32 v146, v140, 0xbf737871, v65 :: v_dual_add_f32 v73, v73, v81
	s_delay_alu instid0(VALU_DEP_3)
	v_dual_fmac_f32 v65, 0x3f737871, v140 :: v_dual_add_f32 v74, v74, v82
	v_dual_fmamk_f32 v76, v148, 0xbf737871, v136 :: v_dual_fmamk_f32 v79, v157, 0xbf737871, v67
	v_dual_fmamk_f32 v77, v149, 0x3f737871, v66 :: v_dual_fmamk_f32 v78, v70, 0x3f737871, v139
	v_dual_fmac_f32 v66, 0xbf737871, v149 :: v_dual_add_f32 v75, v75, v83
	v_dual_add_f32 v142, v158, v159 :: v_dual_add_f32 v71, v71, v161
	v_dual_fmac_f32 v136, 0x3f737871, v148 :: v_dual_fmac_f32 v67, 0x3f737871, v157
	v_fmac_f32_e32 v139, 0xbf737871, v70
	v_fmac_f32_e32 v145, 0x3f167918, v140
	;; [unrolled: 1-line block ×3, first 2 shown]
	v_dual_fmac_f32 v146, 0x3f167918, v68 :: v_dual_fmac_f32 v79, 0x3f167918, v70
	v_dual_fmac_f32 v65, 0xbf167918, v68 :: v_dual_fmac_f32 v76, 0xbf167918, v149
	v_fmac_f32_e32 v66, 0x3f167918, v148
	v_dual_add_f32 v72, v72, v80 :: v_dual_fmac_f32 v139, 0xbf167918, v157
	v_fmac_f32_e32 v136, 0x3f167918, v149
	v_fmac_f32_e32 v77, 0xbf167918, v148
	v_fmac_f32_e32 v67, 0xbf167918, v70
	s_delay_alu instid0(VALU_DEP_4)
	v_dual_add_f32 v68, v72, v74 :: v_dual_fmac_f32 v145, 0x3e9e377a, v135
	v_fmac_f32_e32 v146, 0x3e9e377a, v69
	v_dual_fmac_f32 v134, 0x3e9e377a, v135 :: v_dual_fmac_f32 v65, 0x3e9e377a, v69
	v_fmac_f32_e32 v79, 0x3e9e377a, v71
	v_dual_add_f32 v69, v73, v75 :: v_dual_fmac_f32 v66, 0x3e9e377a, v138
	v_dual_fmac_f32 v143, 0xbf167918, v132 :: v_dual_fmac_f32 v144, 0xbf167918, v131
	v_dual_fmac_f32 v78, 0x3f167918, v157 :: v_dual_sub_f32 v75, v73, v75
	v_dual_fmac_f32 v76, 0x3e9e377a, v137 :: v_dual_fmac_f32 v77, 0x3e9e377a, v138
	v_dual_sub_f32 v74, v72, v74 :: v_dual_mul_f32 v81, 0xbf737871, v79
	v_dual_fmac_f32 v129, 0x3f167918, v132 :: v_dual_fmac_f32 v64, 0x3f167918, v131
	v_dual_fmac_f32 v143, 0x3e9e377a, v130 :: v_dual_fmac_f32 v144, 0x3e9e377a, v133
	;; [unrolled: 1-line block ×4, first 2 shown]
	v_dual_mul_f32 v132, 0x3e9e377a, v79 :: v_dual_fmac_f32 v81, 0x3e9e377a, v77
	v_mul_f32_e32 v131, 0x3f167918, v76
	v_dual_fmac_f32 v129, 0x3e9e377a, v130 :: v_dual_fmac_f32 v64, 0x3e9e377a, v133
	s_delay_alu instid0(VALU_DEP_3) | instskip(SKIP_1) | instid1(VALU_DEP_4)
	v_fmac_f32_e32 v132, 0x3f737871, v77
	v_mul_f32_e32 v130, 0xbf167918, v139
	v_fmac_f32_e32 v131, 0x3f4f1bbd, v78
	v_mul_f32_e32 v80, 0xbf167918, v78
	s_delay_alu instid0(VALU_DEP_4) | instskip(NEXT) | instid1(VALU_DEP_4)
	v_dual_sub_f32 v82, v144, v81 :: v_dual_add_f32 v77, v146, v132
	v_dual_mul_f32 v133, 0xbf4f1bbd, v139 :: v_dual_fmac_f32 v130, 0xbf4f1bbd, v136
	s_delay_alu instid0(VALU_DEP_3) | instskip(SKIP_1) | instid1(VALU_DEP_3)
	v_dual_add_f32 v71, v145, v131 :: v_dual_fmac_f32 v80, 0x3f4f1bbd, v76
	v_mul_f32_e32 v83, 0xbf737871, v67
	v_dual_mul_f32 v67, 0xbe9e377a, v67 :: v_dual_add_f32 v72, v129, v130
	s_delay_alu instid0(VALU_DEP_4) | instskip(NEXT) | instid1(VALU_DEP_2)
	v_dual_fmac_f32 v133, 0x3f167918, v136 :: v_dual_add_f32 v76, v144, v81
	v_fmac_f32_e32 v67, 0x3f737871, v66
	s_delay_alu instid0(VALU_DEP_1) | instskip(SKIP_1) | instid1(VALU_DEP_4)
	v_dual_add_f32 v79, v65, v67 :: v_dual_add_f32 v70, v143, v80
	v_dual_fmac_f32 v83, 0xbe9e377a, v66 :: v_dual_sub_f32 v80, v143, v80
	v_dual_add_f32 v73, v134, v133 :: v_dual_sub_f32 v66, v129, v130
	v_sub_f32_e32 v65, v65, v67
	s_delay_alu instid0(VALU_DEP_3)
	v_add_f32_e32 v78, v64, v83
	v_dual_sub_f32 v64, v64, v83 :: v_dual_sub_f32 v83, v146, v132
	v_sub_f32_e32 v81, v145, v131
	v_sub_f32_e32 v67, v134, v133
	ds_store_b128 v117, v[68:71]
	ds_store_b128 v117, v[76:79] offset:16
	ds_store_b128 v117, v[72:75] offset:32
	;; [unrolled: 1-line block ×4, first 2 shown]
	global_wb scope:SCOPE_SE
	s_wait_dscnt 0x0
	s_barrier_signal -1
	s_barrier_wait -1
	global_inv scope:SCOPE_SE
	ds_load_2addr_b64 v[72:75], v116 offset1:162
	ds_load_2addr_b64 v[68:71], v113 offset0:4 offset1:220
	ds_load_2addr_b64 v[80:83], v114 offset0:56 offset1:218
	;; [unrolled: 1-line block ×3, first 2 shown]
	ds_load_b64 v[64:65], v116 offset:11232
	s_and_saveexec_b32 s1, vcc_lo
	s_cbranch_execz .LBB0_19
; %bb.18:
	ds_load_b64 v[66:67], v116 offset:3888
	ds_load_b64 v[111:112], v116 offset:8208
	ds_load_b64 v[109:110], v116 offset:12528
.LBB0_19:
	s_wait_alu 0xfffe
	s_or_b32 exec_lo, exec_lo, s1
	s_wait_dscnt 0x2
	v_dual_mul_f32 v113, v13, v71 :: v_dual_mul_f32 v114, v15, v81
	v_mul_f32_e32 v13, v13, v70
	v_mul_f32_e32 v15, v15, v80
	global_wb scope:SCOPE_SE
	s_wait_dscnt 0x0
	v_dual_fmac_f32 v113, v12, v70 :: v_dual_fmac_f32 v114, v14, v80
	v_fma_f32 v12, v12, v71, -v13
	v_mul_f32_e32 v70, v5, v79
	v_mul_f32_e32 v13, v9, v77
	;; [unrolled: 1-line block ×3, first 2 shown]
	v_fma_f32 v14, v14, v81, -v15
	s_barrier_signal -1
	v_fmac_f32_e32 v70, v4, v78
	v_fmac_f32_e32 v13, v8, v76
	v_dual_mul_f32 v76, v1, v112 :: v_dual_mul_f32 v15, v11, v83
	v_mul_f32_e32 v5, v5, v78
	v_mul_f32_e32 v11, v11, v82
	s_barrier_wait -1
	s_delay_alu instid0(VALU_DEP_3)
	v_fmac_f32_e32 v76, v0, v111
	v_fma_f32 v8, v8, v77, -v9
	v_mul_f32_e32 v1, v1, v111
	v_fma_f32 v71, v4, v79, -v5
	v_sub_f32_e32 v5, v12, v14
	v_fma_f32 v9, v10, v83, -v11
	global_inv scope:SCOPE_SE
	v_fma_f32 v77, v0, v112, -v1
	v_add_f32_e32 v0, v113, v114
	s_delay_alu instid0(VALU_DEP_1) | instskip(NEXT) | instid1(VALU_DEP_1)
	v_fma_f32 v0, -0.5, v0, v72
	v_dual_fmac_f32 v15, v10, v82 :: v_dual_fmamk_f32 v4, v5, 0xbf5db3d7, v0
	v_mul_f32_e32 v11, v7, v65
	v_dual_mul_f32 v7, v7, v64 :: v_dual_fmac_f32 v0, 0x3f5db3d7, v5
	s_delay_alu instid0(VALU_DEP_2) | instskip(NEXT) | instid1(VALU_DEP_2)
	v_fmac_f32_e32 v11, v6, v64
	v_fma_f32 v64, v6, v65, -v7
	v_mul_f32_e32 v65, v3, v110
	v_dual_mul_f32 v3, v3, v109 :: v_dual_add_f32 v6, v73, v12
	s_delay_alu instid0(VALU_DEP_1)
	v_fma_f32 v78, v2, v110, -v3
	v_add_f32_e32 v3, v12, v14
	v_sub_f32_e32 v12, v8, v9
	v_add_f32_e32 v1, v72, v113
	v_fmac_f32_e32 v65, v2, v109
	v_sub_f32_e32 v7, v113, v114
	s_delay_alu instid0(VALU_DEP_3) | instskip(SKIP_4) | instid1(VALU_DEP_4)
	v_add_f32_e32 v2, v1, v114
	v_fma_f32 v1, -0.5, v3, v73
	v_dual_add_f32 v3, v6, v14 :: v_dual_add_f32 v6, v13, v15
	v_add_f32_e32 v10, v74, v13
	v_sub_f32_e32 v14, v71, v64
	v_fmamk_f32 v5, v7, 0x3f5db3d7, v1
	v_fmac_f32_e32 v1, 0xbf5db3d7, v7
	v_add_f32_e32 v7, v8, v9
	v_fma_f32 v74, -0.5, v6, v74
	v_add_f32_e32 v6, v10, v15
	s_delay_alu instid0(VALU_DEP_3) | instskip(NEXT) | instid1(VALU_DEP_3)
	v_dual_add_f32 v10, v75, v8 :: v_dual_fmac_f32 v75, -0.5, v7
	v_fmamk_f32 v8, v12, 0xbf5db3d7, v74
	s_delay_alu instid0(VALU_DEP_2) | instskip(SKIP_3) | instid1(VALU_DEP_3)
	v_dual_fmac_f32 v74, 0x3f5db3d7, v12 :: v_dual_add_f32 v7, v10, v9
	v_add_f32_e32 v10, v70, v11
	v_add_f32_e32 v12, v68, v70
	v_sub_f32_e32 v70, v70, v11
	v_fma_f32 v68, -0.5, v10, v68
	s_delay_alu instid0(VALU_DEP_3) | instskip(NEXT) | instid1(VALU_DEP_2)
	v_add_f32_e32 v10, v12, v11
	v_fmamk_f32 v12, v14, 0xbf5db3d7, v68
	v_fmac_f32_e32 v68, 0x3f5db3d7, v14
	v_dual_add_f32 v14, v76, v65 :: v_dual_sub_f32 v13, v13, v15
	v_add_f32_e32 v15, v69, v71
	s_delay_alu instid0(VALU_DEP_2) | instskip(SKIP_2) | instid1(VALU_DEP_4)
	v_fmamk_f32 v9, v13, 0x3f5db3d7, v75
	v_fmac_f32_e32 v75, 0xbf5db3d7, v13
	v_add_f32_e32 v13, v71, v64
	v_add_f32_e32 v11, v15, v64
	v_dual_add_f32 v15, v77, v78 :: v_dual_add_f32 v64, v66, v76
	s_delay_alu instid0(VALU_DEP_3) | instskip(SKIP_1) | instid1(VALU_DEP_3)
	v_dual_fmac_f32 v66, -0.5, v14 :: v_dual_fmac_f32 v69, -0.5, v13
	v_dual_sub_f32 v14, v77, v78 :: v_dual_add_f32 v71, v67, v77
	v_fmac_f32_e32 v67, -0.5, v15
	v_sub_f32_e32 v15, v76, v65
	s_delay_alu instid0(VALU_DEP_4)
	v_fmamk_f32 v13, v70, 0x3f5db3d7, v69
	v_dual_fmac_f32 v69, 0xbf5db3d7, v70 :: v_dual_add_f32 v64, v64, v65
	v_fmamk_f32 v70, v14, 0xbf5db3d7, v66
	v_fmac_f32_e32 v66, 0x3f5db3d7, v14
	v_add_f32_e32 v65, v71, v78
	v_fmamk_f32 v71, v15, 0x3f5db3d7, v67
	v_fmac_f32_e32 v67, 0xbf5db3d7, v15
	ds_store_2addr_b64 v122, v[2:3], v[4:5] offset1:10
	ds_store_b64 v122, v[0:1] offset:160
	ds_store_2addr_b64 v121, v[6:7], v[8:9] offset1:10
	ds_store_b64 v121, v[74:75] offset:160
	;; [unrolled: 2-line block ×3, first 2 shown]
	s_and_saveexec_b32 s1, vcc_lo
	s_cbranch_execz .LBB0_21
; %bb.20:
	v_mad_u16 v0, v118, 30, v119
	s_delay_alu instid0(VALU_DEP_1) | instskip(NEXT) | instid1(VALU_DEP_1)
	v_and_b32_e32 v0, 0xffff, v0
	v_lshlrev_b32_e32 v0, 3, v0
	ds_store_2addr_b64 v0, v[64:65], v[70:71] offset1:10
	ds_store_b64 v0, v[66:67] offset:160
.LBB0_21:
	s_wait_alu 0xfffe
	s_or_b32 exec_lo, exec_lo, s1
	v_add_nc_u32_e32 v0, 0xa00, v116
	v_add_nc_u32_e32 v8, 0x2000, v116
	;; [unrolled: 1-line block ×3, first 2 shown]
	global_wb scope:SCOPE_SE
	s_wait_dscnt 0x0
	s_barrier_signal -1
	s_barrier_wait -1
	global_inv scope:SCOPE_SE
	ds_load_2addr_b64 v[4:7], v116 offset1:162
	ds_load_2addr_b64 v[0:3], v0 offset0:4 offset1:220
	ds_load_2addr_b64 v[12:15], v8 offset0:56 offset1:218
	;; [unrolled: 1-line block ×3, first 2 shown]
	ds_load_b64 v[68:69], v116 offset:11232
	s_and_saveexec_b32 s1, vcc_lo
	s_cbranch_execz .LBB0_23
; %bb.22:
	ds_load_b64 v[64:65], v116 offset:3888
	ds_load_b64 v[70:71], v116 offset:8208
	;; [unrolled: 1-line block ×3, first 2 shown]
.LBB0_23:
	s_wait_alu 0xfffe
	s_or_b32 exec_lo, exec_lo, s1
	s_wait_dscnt 0x2
	v_dual_mul_f32 v72, v29, v3 :: v_dual_mul_f32 v73, v31, v13
	v_mul_f32_e32 v29, v29, v2
	v_mul_f32_e32 v31, v31, v12
	global_wb scope:SCOPE_SE
	s_wait_dscnt 0x0
	v_dual_fmac_f32 v72, v28, v2 :: v_dual_fmac_f32 v73, v30, v12
	v_fma_f32 v2, v28, v3, -v29
	v_mul_f32_e32 v3, v25, v9
	v_dual_mul_f32 v12, v25, v8 :: v_dual_mul_f32 v25, v27, v15
	v_fma_f32 v13, v30, v13, -v31
	s_barrier_signal -1
	s_delay_alu instid0(VALU_DEP_3) | instskip(NEXT) | instid1(VALU_DEP_3)
	v_dual_fmac_f32 v3, v24, v8 :: v_dual_mul_f32 v8, v27, v14
	v_fma_f32 v9, v24, v9, -v12
	v_dual_mul_f32 v12, v21, v11 :: v_dual_fmac_f32 v25, v26, v14
	v_mul_f32_e32 v14, v21, v10
	s_delay_alu instid0(VALU_DEP_4) | instskip(SKIP_1) | instid1(VALU_DEP_4)
	v_fma_f32 v8, v26, v15, -v8
	v_mul_f32_e32 v24, v23, v69
	v_fmac_f32_e32 v12, v20, v10
	v_dual_mul_f32 v10, v23, v68 :: v_dual_mul_f32 v23, v17, v71
	v_mul_f32_e32 v15, v19, v66
	v_fma_f32 v11, v20, v11, -v14
	v_fmac_f32_e32 v24, v22, v68
	v_mul_f32_e32 v14, v17, v70
	v_fma_f32 v10, v22, v69, -v10
	v_dual_mul_f32 v22, v19, v67 :: v_dual_sub_f32 v17, v2, v13
	v_fma_f32 v27, v18, v67, -v15
	v_dual_add_f32 v15, v2, v13 :: v_dual_add_f32 v2, v5, v2
	v_fmac_f32_e32 v23, v16, v70
	v_fma_f32 v26, v16, v71, -v14
	v_add_f32_e32 v14, v72, v73
	v_dual_fmac_f32 v22, v18, v66 :: v_dual_add_f32 v19, v9, v8
	v_add_f32_e32 v16, v4, v72
	v_fma_f32 v5, -0.5, v15, v5
	v_add_f32_e32 v15, v2, v13
	v_add_f32_e32 v2, v3, v25
	v_fma_f32 v4, -0.5, v14, v4
	v_dual_sub_f32 v18, v72, v73 :: v_dual_add_f32 v13, v6, v3
	s_barrier_wait -1
	s_delay_alu instid0(VALU_DEP_3)
	v_fma_f32 v6, -0.5, v2, v6
	v_dual_sub_f32 v2, v9, v8 :: v_dual_add_f32 v9, v7, v9
	v_fmac_f32_e32 v7, -0.5, v19
	v_sub_f32_e32 v3, v3, v25
	v_add_f32_e32 v14, v16, v73
	v_fmamk_f32 v16, v17, 0xbf5db3d7, v4
	v_dual_fmac_f32 v4, 0x3f5db3d7, v17 :: v_dual_add_f32 v19, v9, v8
	v_fmamk_f32 v17, v18, 0x3f5db3d7, v5
	v_dual_fmac_f32 v5, 0xbf5db3d7, v18 :: v_dual_fmamk_f32 v20, v2, 0xbf5db3d7, v6
	v_dual_add_f32 v18, v13, v25 :: v_dual_fmamk_f32 v21, v3, 0x3f5db3d7, v7
	v_fmac_f32_e32 v6, 0x3f5db3d7, v2
	v_add_f32_e32 v2, v12, v24
	v_dual_add_f32 v8, v0, v12 :: v_dual_sub_f32 v9, v11, v10
	v_fmac_f32_e32 v7, 0xbf5db3d7, v3
	v_add_f32_e32 v3, v11, v10
	v_add_f32_e32 v11, v1, v11
	v_fma_f32 v0, -0.5, v2, v0
	v_add_f32_e32 v2, v8, v24
	s_delay_alu instid0(VALU_DEP_4) | instskip(NEXT) | instid1(VALU_DEP_4)
	v_dual_sub_f32 v12, v12, v24 :: v_dual_fmac_f32 v1, -0.5, v3
	v_add_f32_e32 v3, v11, v10
	v_dual_add_f32 v10, v23, v22 :: v_dual_add_f32 v11, v26, v27
	v_fmamk_f32 v8, v9, 0xbf5db3d7, v0
	s_delay_alu instid0(VALU_DEP_4) | instskip(SKIP_4) | instid1(VALU_DEP_4)
	v_dual_fmac_f32 v0, 0x3f5db3d7, v9 :: v_dual_fmamk_f32 v9, v12, 0x3f5db3d7, v1
	v_dual_fmac_f32 v1, 0xbf5db3d7, v12 :: v_dual_add_f32 v12, v64, v23
	v_sub_f32_e32 v23, v23, v22
	v_dual_fmac_f32 v64, -0.5, v10 :: v_dual_sub_f32 v13, v26, v27
	v_dual_add_f32 v24, v65, v26 :: v_dual_fmac_f32 v65, -0.5, v11
	v_add_f32_e32 v12, v12, v22
	global_inv scope:SCOPE_SE
	v_fmamk_f32 v10, v13, 0xbf5db3d7, v64
	v_dual_fmac_f32 v64, 0x3f5db3d7, v13 :: v_dual_add_f32 v13, v24, v27
	v_fmamk_f32 v11, v23, 0x3f5db3d7, v65
	v_fmac_f32_e32 v65, 0xbf5db3d7, v23
	ds_store_2addr_b64 v126, v[14:15], v[16:17] offset1:30
	ds_store_b64 v126, v[4:5] offset:480
	ds_store_2addr_b64 v125, v[18:19], v[20:21] offset1:30
	ds_store_b64 v125, v[6:7] offset:480
	;; [unrolled: 2-line block ×3, first 2 shown]
	s_and_saveexec_b32 s1, vcc_lo
	s_cbranch_execz .LBB0_25
; %bb.24:
	v_and_b32_e32 v4, 0xffff, v123
	s_delay_alu instid0(VALU_DEP_1)
	v_lshlrev_b32_e32 v4, 3, v4
	ds_store_2addr_b64 v4, v[12:13], v[10:11] offset1:30
	ds_store_b64 v4, v[64:65] offset:480
.LBB0_25:
	s_wait_alu 0xfffe
	s_or_b32 exec_lo, exec_lo, s1
	global_wb scope:SCOPE_SE
	s_wait_dscnt 0x0
	s_barrier_signal -1
	s_barrier_wait -1
	global_inv scope:SCOPE_SE
	ds_load_b64 v[4:5], v116
	ds_load_b64 v[20:21], v116 offset:2160
	ds_load_b64 v[18:19], v116 offset:4320
	;; [unrolled: 1-line block ×5, first 2 shown]
	s_and_saveexec_b32 s1, s0
	s_cbranch_execz .LBB0_27
; %bb.26:
	ds_load_b64 v[2:3], v116 offset:1296
	ds_load_b64 v[8:9], v116 offset:3456
	;; [unrolled: 1-line block ×6, first 2 shown]
.LBB0_27:
	s_wait_alu 0xfffe
	s_or_b32 exec_lo, exec_lo, s1
	s_wait_dscnt 0x3
	v_dual_mul_f32 v22, v49, v21 :: v_dual_mul_f32 v25, v51, v18
	v_dual_mul_f32 v23, v49, v20 :: v_dual_mul_f32 v24, v51, v19
	v_mul_f32_e32 v30, v43, v1
	s_delay_alu instid0(VALU_DEP_3) | instskip(NEXT) | instid1(VALU_DEP_4)
	v_fmac_f32_e32 v22, v48, v20
	v_fma_f32 v19, v50, v19, -v25
	s_delay_alu instid0(VALU_DEP_4)
	v_fma_f32 v20, v48, v21, -v23
	s_wait_dscnt 0x2
	v_dual_mul_f32 v21, v45, v17 :: v_dual_fmac_f32 v24, v50, v18
	s_wait_dscnt 0x1
	v_dual_mul_f32 v23, v47, v15 :: v_dual_mul_f32 v18, v45, v16
	v_fmac_f32_e32 v30, v42, v0
	s_delay_alu instid0(VALU_DEP_3) | instskip(NEXT) | instid1(VALU_DEP_3)
	v_dual_fmac_f32 v21, v44, v16 :: v_dual_mul_f32 v16, v47, v14
	v_fmac_f32_e32 v23, v46, v14
	s_delay_alu instid0(VALU_DEP_4)
	v_fma_f32 v17, v44, v17, -v18
	s_wait_dscnt 0x0
	v_mul_f32_e32 v18, v108, v7
	v_mul_f32_e32 v14, v108, v6
	v_fma_f32 v15, v46, v15, -v16
	v_mul_f32_e32 v16, v41, v9
	global_wb scope:SCOPE_SE
	v_fmac_f32_e32 v18, v107, v6
	v_mul_f32_e32 v6, v41, v8
	s_barrier_signal -1
	v_fmac_f32_e32 v16, v40, v8
	v_mul_f32_e32 v8, v43, v0
	v_mul_f32_e32 v0, v33, v12
	v_fma_f32 v31, v40, v9, -v6
	v_dual_mul_f32 v6, v33, v13 :: v_dual_mul_f32 v9, v35, v10
	s_delay_alu instid0(VALU_DEP_4) | instskip(SKIP_1) | instid1(VALU_DEP_3)
	v_fma_f32 v1, v42, v1, -v8
	v_dual_mul_f32 v8, v35, v11 :: v_dual_mul_f32 v33, v106, v65
	v_fmac_f32_e32 v6, v32, v12
	v_add_f32_e32 v12, v5, v19
	v_fma_f32 v32, v32, v13, -v0
	s_delay_alu instid0(VALU_DEP_4)
	v_fmac_f32_e32 v8, v34, v10
	v_fma_f32 v9, v34, v11, -v9
	v_fma_f32 v7, v107, v7, -v14
	v_dual_add_f32 v25, v12, v15 :: v_dual_mul_f32 v0, v106, v64
	v_fmac_f32_e32 v33, v105, v64
	v_dual_add_f32 v11, v4, v24 :: v_dual_add_f32 v12, v21, v18
	v_add_f32_e32 v13, v20, v17
	s_delay_alu instid0(VALU_DEP_4)
	v_fma_f32 v34, v105, v65, -v0
	v_add_f32_e32 v0, v19, v15
	v_add_f32_e32 v14, v22, v21
	v_fmac_f32_e32 v22, -0.5, v12
	v_sub_f32_e32 v12, v17, v7
	v_add_f32_e32 v11, v11, v23
	v_dual_fmac_f32 v5, -0.5, v0 :: v_dual_sub_f32 v0, v24, v23
	s_barrier_wait -1
	global_inv scope:SCOPE_SE
	v_fmamk_f32 v27, v0, 0x3f5db3d7, v5
	v_dual_add_f32 v10, v24, v23 :: v_dual_fmac_f32 v5, 0xbf5db3d7, v0
	s_delay_alu instid0(VALU_DEP_1) | instskip(SKIP_1) | instid1(VALU_DEP_1)
	v_fma_f32 v4, -0.5, v10, v4
	v_sub_f32_e32 v10, v19, v15
	v_fmamk_f32 v19, v10, 0xbf5db3d7, v4
	v_fmac_f32_e32 v4, 0x3f5db3d7, v10
	v_add_f32_e32 v10, v17, v7
	v_add_f32_e32 v7, v13, v7
	s_delay_alu instid0(VALU_DEP_1) | instskip(SKIP_1) | instid1(VALU_DEP_4)
	v_add_f32_e32 v13, v25, v7
	v_sub_f32_e32 v25, v25, v7
	v_dual_add_f32 v7, v3, v1 :: v_dual_fmac_f32 v20, -0.5, v10
	v_sub_f32_e32 v10, v21, v18
	s_delay_alu instid0(VALU_DEP_1)
	v_fmamk_f32 v0, v10, 0x3f5db3d7, v20
	v_fmac_f32_e32 v20, 0xbf5db3d7, v10
	v_add_f32_e32 v10, v14, v18
	v_fmamk_f32 v14, v12, 0xbf5db3d7, v22
	v_fmac_f32_e32 v22, 0x3f5db3d7, v12
	v_mul_f32_e32 v17, 0xbf5db3d7, v0
	v_mul_f32_e32 v18, 0xbf5db3d7, v20
	v_mul_f32_e32 v0, 0.5, v0
	s_delay_alu instid0(VALU_DEP_3) | instskip(NEXT) | instid1(VALU_DEP_3)
	v_dual_mul_f32 v20, -0.5, v20 :: v_dual_fmac_f32 v17, 0.5, v14
	v_fmac_f32_e32 v18, -0.5, v22
	s_delay_alu instid0(VALU_DEP_3) | instskip(NEXT) | instid1(VALU_DEP_3)
	v_fmac_f32_e32 v0, 0x3f5db3d7, v14
	v_fmac_f32_e32 v20, 0x3f5db3d7, v22
	s_delay_alu instid0(VALU_DEP_3)
	v_add_f32_e32 v22, v4, v18
	v_sub_f32_e32 v28, v4, v18
	v_add_f32_e32 v4, v30, v8
	v_add_f32_e32 v15, v27, v0
	;; [unrolled: 1-line block ×3, first 2 shown]
	v_dual_sub_f32 v27, v27, v0 :: v_dual_add_f32 v0, v2, v30
	v_sub_f32_e32 v29, v5, v20
	v_dual_add_f32 v5, v1, v9 :: v_dual_fmac_f32 v2, -0.5, v4
	v_sub_f32_e32 v4, v1, v9
	s_delay_alu instid0(VALU_DEP_4) | instskip(NEXT) | instid1(VALU_DEP_3)
	v_add_f32_e32 v0, v0, v8
	v_dual_sub_f32 v8, v30, v8 :: v_dual_fmac_f32 v3, -0.5, v5
	v_add_nc_u32_e32 v30, 0x400, v127
	s_delay_alu instid0(VALU_DEP_4)
	v_fmamk_f32 v1, v4, 0xbf5db3d7, v2
	v_fmac_f32_e32 v2, 0x3f5db3d7, v4
	v_add_f32_e32 v4, v7, v9
	v_add_f32_e32 v7, v6, v33
	v_fmamk_f32 v5, v8, 0x3f5db3d7, v3
	v_dual_sub_f32 v9, v6, v33 :: v_dual_add_f32 v6, v16, v6
	v_dual_fmac_f32 v3, 0xbf5db3d7, v8 :: v_dual_add_f32 v12, v11, v10
	v_sub_f32_e32 v24, v11, v10
	v_add_f32_e32 v10, v32, v34
	v_dual_fmac_f32 v16, -0.5, v7 :: v_dual_sub_f32 v7, v32, v34
	v_sub_f32_e32 v26, v19, v17
	v_add_f32_e32 v6, v6, v33
	s_delay_alu instid0(VALU_DEP_3) | instskip(SKIP_3) | instid1(VALU_DEP_1)
	v_fmamk_f32 v18, v7, 0xbf5db3d7, v16
	v_add_f32_e32 v14, v19, v17
	v_add_f32_e32 v17, v31, v32
	v_dual_fmac_f32 v31, -0.5, v10 :: v_dual_fmac_f32 v16, 0x3f5db3d7, v7
	v_fmamk_f32 v10, v9, 0x3f5db3d7, v31
	v_fmac_f32_e32 v31, 0xbf5db3d7, v9
	s_delay_alu instid0(VALU_DEP_1) | instskip(SKIP_2) | instid1(VALU_DEP_3)
	v_dual_mul_f32 v7, 0xbf5db3d7, v10 :: v_dual_mul_f32 v8, 0xbf5db3d7, v31
	v_mul_f32_e32 v9, 0.5, v10
	v_dual_mul_f32 v11, -0.5, v31 :: v_dual_add_f32 v10, v17, v34
	v_dual_fmac_f32 v7, 0.5, v18 :: v_dual_fmac_f32 v8, -0.5, v16
	s_delay_alu instid0(VALU_DEP_3) | instskip(NEXT) | instid1(VALU_DEP_3)
	v_fmac_f32_e32 v9, 0x3f5db3d7, v18
	v_dual_fmac_f32 v11, 0x3f5db3d7, v16 :: v_dual_sub_f32 v16, v0, v6
	s_delay_alu instid0(VALU_DEP_3) | instskip(NEXT) | instid1(VALU_DEP_4)
	v_sub_f32_e32 v18, v1, v7
	v_dual_sub_f32 v20, v2, v8 :: v_dual_sub_f32 v17, v4, v10
	s_delay_alu instid0(VALU_DEP_4) | instskip(NEXT) | instid1(VALU_DEP_4)
	v_sub_f32_e32 v19, v5, v9
	v_sub_f32_e32 v21, v3, v11
	v_add_nc_u32_e32 v31, 0x800, v127
	ds_store_2addr_b64 v127, v[12:13], v[14:15] offset1:90
	ds_store_2addr_b64 v30, v[22:23], v[24:25] offset0:52 offset1:142
	ds_store_2addr_b64 v31, v[26:27], v[28:29] offset0:104 offset1:194
	s_and_saveexec_b32 s1, s0
	s_cbranch_execz .LBB0_29
; %bb.28:
	v_dual_add_f32 v3, v3, v11 :: v_dual_and_b32 v12, 0xffff, v128
	v_dual_add_f32 v5, v5, v9 :: v_dual_add_f32 v2, v2, v8
	s_delay_alu instid0(VALU_DEP_2) | instskip(SKIP_1) | instid1(VALU_DEP_2)
	v_lshlrev_b32_e32 v11, 3, v12
	v_dual_add_f32 v9, v4, v10 :: v_dual_add_f32 v4, v1, v7
	v_dual_add_f32 v8, v0, v6 :: v_dual_add_nc_u32 v1, 0x800, v11
	v_add_nc_u32_e32 v0, 0x400, v11
	ds_store_2addr_b64 v11, v[8:9], v[4:5] offset1:90
	ds_store_2addr_b64 v0, v[2:3], v[16:17] offset0:52 offset1:142
	ds_store_2addr_b64 v1, v[18:19], v[20:21] offset0:104 offset1:194
.LBB0_29:
	s_wait_alu 0xfffe
	s_or_b32 exec_lo, exec_lo, s1
	v_add_nc_u32_e32 v0, 0xa00, v116
	v_add_nc_u32_e32 v8, 0x2000, v116
	;; [unrolled: 1-line block ×3, first 2 shown]
	global_wb scope:SCOPE_SE
	s_wait_dscnt 0x0
	s_barrier_signal -1
	s_barrier_wait -1
	global_inv scope:SCOPE_SE
	ds_load_2addr_b64 v[4:7], v116 offset1:162
	ds_load_2addr_b64 v[0:3], v0 offset0:4 offset1:220
	ds_load_2addr_b64 v[12:15], v8 offset0:56 offset1:218
	;; [unrolled: 1-line block ×3, first 2 shown]
	ds_load_b64 v[22:23], v116 offset:11232
	s_and_saveexec_b32 s0, vcc_lo
	s_cbranch_execz .LBB0_31
; %bb.30:
	ds_load_b64 v[16:17], v116 offset:3888
	ds_load_b64 v[18:19], v116 offset:8208
	;; [unrolled: 1-line block ×3, first 2 shown]
.LBB0_31:
	s_wait_alu 0xfffe
	s_or_b32 exec_lo, exec_lo, s0
	s_wait_dscnt 0x2
	v_dual_mul_f32 v25, v61, v3 :: v_dual_mul_f32 v28, v63, v12
	v_dual_mul_f32 v26, v61, v2 :: v_dual_mul_f32 v27, v63, v13
	s_wait_dscnt 0x1
	v_mul_f32_e32 v29, v57, v11
	s_delay_alu instid0(VALU_DEP_3) | instskip(NEXT) | instid1(VALU_DEP_3)
	v_dual_fmac_f32 v25, v60, v2 :: v_dual_mul_f32 v2, v53, v8
	v_fma_f32 v3, v60, v3, -v26
	v_dual_mul_f32 v26, v53, v9 :: v_dual_fmac_f32 v27, v62, v12
	v_fma_f32 v12, v62, v13, -v28
	v_mul_f32_e32 v13, v55, v15
	v_fma_f32 v28, v52, v9, -v2
	s_delay_alu instid0(VALU_DEP_4)
	v_fmac_f32_e32 v26, v52, v8
	v_mul_f32_e32 v8, v55, v14
	v_mul_f32_e32 v2, v57, v10
	v_fmac_f32_e32 v13, v54, v14
	v_add_f32_e32 v9, v4, v25
	v_fmac_f32_e32 v29, v56, v10
	v_fma_f32 v14, v54, v15, -v8
	s_wait_dscnt 0x0
	v_mul_f32_e32 v15, v59, v23
	v_mul_f32_e32 v8, v59, v22
	v_fma_f32 v30, v56, v11, -v2
	v_add_f32_e32 v2, v25, v27
	s_delay_alu instid0(VALU_DEP_4) | instskip(NEXT) | instid1(VALU_DEP_4)
	v_dual_sub_f32 v10, v3, v12 :: v_dual_fmac_f32 v15, v58, v22
	v_fma_f32 v23, v58, v23, -v8
	v_add_f32_e32 v8, v3, v12
	s_delay_alu instid0(VALU_DEP_4)
	v_fma_f32 v2, -0.5, v2, v4
	v_sub_f32_e32 v11, v25, v27
	v_add_f32_e32 v4, v9, v27
	v_add_f32_e32 v9, v5, v3
	v_fma_f32 v3, -0.5, v8, v5
	v_fmamk_f32 v8, v10, 0xbf5db3d7, v2
	v_fmac_f32_e32 v2, 0x3f5db3d7, v10
	s_delay_alu instid0(VALU_DEP_4) | instskip(NEXT) | instid1(VALU_DEP_4)
	v_dual_add_f32 v10, v26, v13 :: v_dual_add_f32 v5, v9, v12
	v_dual_fmamk_f32 v9, v11, 0x3f5db3d7, v3 :: v_dual_add_f32 v12, v6, v26
	v_fmac_f32_e32 v3, 0xbf5db3d7, v11
	v_dual_add_f32 v11, v28, v14 :: v_dual_sub_f32 v26, v26, v13
	s_delay_alu instid0(VALU_DEP_4) | instskip(SKIP_1) | instid1(VALU_DEP_3)
	v_fma_f32 v6, -0.5, v10, v6
	v_dual_sub_f32 v22, v28, v14 :: v_dual_add_f32 v25, v7, v28
	v_dual_add_f32 v10, v12, v13 :: v_dual_fmac_f32 v7, -0.5, v11
	s_delay_alu instid0(VALU_DEP_2) | instskip(NEXT) | instid1(VALU_DEP_3)
	v_dual_add_f32 v27, v1, v30 :: v_dual_fmamk_f32 v12, v22, 0xbf5db3d7, v6
	v_add_f32_e32 v11, v25, v14
	v_add_f32_e32 v14, v29, v15
	s_delay_alu instid0(VALU_DEP_4) | instskip(SKIP_2) | instid1(VALU_DEP_4)
	v_dual_fmac_f32 v6, 0x3f5db3d7, v22 :: v_dual_fmamk_f32 v13, v26, 0x3f5db3d7, v7
	v_dual_add_f32 v22, v30, v23 :: v_dual_add_f32 v25, v0, v29
	v_fmac_f32_e32 v7, 0xbf5db3d7, v26
	v_fma_f32 v0, -0.5, v14, v0
	s_delay_alu instid0(VALU_DEP_3) | instskip(SKIP_2) | instid1(VALU_DEP_3)
	v_dual_sub_f32 v26, v30, v23 :: v_dual_fmac_f32 v1, -0.5, v22
	v_sub_f32_e32 v28, v29, v15
	v_add_f32_e32 v14, v25, v15
	v_dual_add_f32 v15, v27, v23 :: v_dual_fmamk_f32 v22, v26, 0xbf5db3d7, v0
	s_delay_alu instid0(VALU_DEP_3)
	v_dual_fmac_f32 v0, 0x3f5db3d7, v26 :: v_dual_fmamk_f32 v23, v28, 0x3f5db3d7, v1
	v_fmac_f32_e32 v1, 0xbf5db3d7, v28
	ds_store_b64 v116, v[8:9] offset:4320
	ds_store_b64 v116, v[2:3] offset:8640
	ds_store_2addr_b64 v116, v[4:5], v[10:11] offset1:162
	ds_store_b64 v116, v[6:7] offset:9936
	ds_store_b64 v116, v[14:15] offset:2592
	ds_store_2addr_b64 v24, v[12:13], v[22:23] offset0:62 offset1:224
	ds_store_b64 v116, v[0:1] offset:11232
	s_and_saveexec_b32 s0, vcc_lo
	s_cbranch_execz .LBB0_33
; %bb.32:
	v_dual_mul_f32 v0, v37, v18 :: v_dual_mul_f32 v1, v39, v20
	s_delay_alu instid0(VALU_DEP_1) | instskip(NEXT) | instid1(VALU_DEP_2)
	v_fma_f32 v0, v36, v19, -v0
	v_fma_f32 v3, v38, v21, -v1
	s_delay_alu instid0(VALU_DEP_2) | instskip(NEXT) | instid1(VALU_DEP_1)
	v_dual_mul_f32 v4, v39, v21 :: v_dual_add_f32 v7, v17, v0
	v_dual_add_f32 v1, v0, v3 :: v_dual_fmac_f32 v4, v38, v20
	s_delay_alu instid0(VALU_DEP_1) | instskip(SKIP_2) | instid1(VALU_DEP_2)
	v_fma_f32 v1, -0.5, v1, v17
	v_mul_f32_e32 v2, v37, v19
	v_sub_f32_e32 v8, v0, v3
	v_dual_add_f32 v3, v7, v3 :: v_dual_fmac_f32 v2, v36, v18
	s_delay_alu instid0(VALU_DEP_1) | instskip(SKIP_2) | instid1(VALU_DEP_3)
	v_add_f32_e32 v5, v2, v4
	v_sub_f32_e32 v6, v2, v4
	v_add_f32_e32 v2, v16, v2
	v_fma_f32 v0, -0.5, v5, v16
	s_delay_alu instid0(VALU_DEP_3) | instskip(NEXT) | instid1(VALU_DEP_3)
	v_fmamk_f32 v5, v6, 0xbf5db3d7, v1
	v_dual_add_f32 v2, v2, v4 :: v_dual_fmac_f32 v1, 0x3f5db3d7, v6
	s_delay_alu instid0(VALU_DEP_3)
	v_fmamk_f32 v4, v8, 0x3f5db3d7, v0
	v_fmac_f32_e32 v0, 0xbf5db3d7, v8
	ds_store_b64 v116, v[2:3] offset:3888
	ds_store_b64 v116, v[0:1] offset:8208
	;; [unrolled: 1-line block ×3, first 2 shown]
.LBB0_33:
	s_wait_alu 0xfffe
	s_or_b32 exec_lo, exec_lo, s0
	global_wb scope:SCOPE_SE
	s_wait_dscnt 0x0
	s_barrier_signal -1
	s_barrier_wait -1
	global_inv scope:SCOPE_SE
	ds_load_2addr_b64 v[0:3], v116 offset1:162
	v_add_nc_u32_e32 v4, 0x800, v116
	v_add_nc_u32_e32 v8, 0x1400, v116
	s_mov_b32 s0, 0x30abee4d
	s_mov_b32 s1, 0x3f443a27
	v_mad_co_u64_u32 v[16:17], null, s6, v84, 0
	v_mad_co_u64_u32 v[42:43], null, s4, v115, 0
	s_wait_dscnt 0x0
	v_mul_f32_e32 v21, v96, v2
	ds_load_2addr_b64 v[4:7], v4 offset0:68 offset1:230
	ds_load_2addr_b64 v[8:11], v8 offset0:8 offset1:170
	v_add_nc_u32_e32 v12, 0x1c00, v116
	v_mul_f32_e32 v18, v94, v1
	v_dual_mul_f32 v19, v94, v0 :: v_dual_mul_f32 v20, v96, v3
	s_delay_alu instid0(VALU_DEP_2) | instskip(NEXT) | instid1(VALU_DEP_2)
	v_fmac_f32_e32 v18, v93, v0
	v_fma_f32 v0, v93, v1, -v19
	s_delay_alu instid0(VALU_DEP_3) | instskip(SKIP_1) | instid1(VALU_DEP_1)
	v_fmac_f32_e32 v20, v95, v2
	v_fma_f32 v1, v95, v3, -v21
	v_cvt_f64_f32_e32 v[22:23], v1
	v_add_nc_u32_e32 v1, 0x2800, v116
	s_delay_alu instid0(VALU_DEP_4)
	v_cvt_f64_f32_e32 v[20:21], v20
	s_wait_dscnt 0x1
	v_mul_f32_e32 v3, v100, v4
	s_wait_dscnt 0x0
	v_mul_f32_e32 v33, v92, v10
	ds_load_2addr_b64 v[12:15], v12 offset0:76 offset1:238
	v_mul_f32_e32 v2, v100, v5
	v_mul_f32_e32 v28, v86, v7
	v_fma_f32 v3, v99, v5, -v3
	v_dual_mul_f32 v29, v86, v6 :: v_dual_mul_f32 v32, v92, v11
	v_fma_f32 v33, v91, v11, -v33
	s_delay_alu instid0(VALU_DEP_3) | instskip(NEXT) | instid1(VALU_DEP_3)
	v_cvt_f64_f32_e32 v[26:27], v3
	v_fma_f32 v29, v85, v7, -v29
	s_delay_alu instid0(VALU_DEP_4) | instskip(NEXT) | instid1(VALU_DEP_1)
	v_fmac_f32_e32 v32, v91, v10
	v_cvt_f64_f32_e32 v[10:11], v32
	s_wait_dscnt 0x0
	v_mul_f32_e32 v35, v98, v12
	v_fmac_f32_e32 v2, v99, v4
	v_cvt_f64_f32_e32 v[4:5], v0
	v_mul_f32_e32 v0, v90, v8
	v_mul_f32_e32 v36, v88, v15
	;; [unrolled: 1-line block ×3, first 2 shown]
	v_cvt_f64_f32_e32 v[24:25], v2
	v_fma_f32 v35, v97, v13, -v35
	v_fma_f32 v31, v89, v9, -v0
	ds_load_2addr_b64 v[0:3], v1 offset0:16 offset1:178
	v_fmac_f32_e32 v36, v87, v14
	v_mul_f32_e32 v14, v88, v14
	v_fmac_f32_e32 v34, v97, v12
	v_cvt_f64_f32_e32 v[12:13], v33
	s_wait_alu 0xfffe
	v_mul_f64_e32 v[20:21], s[0:1], v[20:21]
	v_cvt_f64_f32_e32 v[36:37], v36
	v_fma_f32 v14, v87, v15, -v14
	v_cvt_f64_f32_e32 v[32:33], v34
	v_cvt_f64_f32_e32 v[34:35], v35
	v_mul_f64_e32 v[22:23], s[0:1], v[22:23]
	v_mul_f64_e32 v[26:27], s[0:1], v[26:27]
	s_wait_dscnt 0x0
	v_mul_f32_e32 v41, v104, v2
	v_cvt_f64_f32_e32 v[18:19], v18
	v_mul_f32_e32 v38, v102, v1
	v_mul_f32_e32 v40, v104, v3
	v_mul_f64_e32 v[10:11], s[0:1], v[10:11]
	v_fma_f32 v41, v103, v3, -v41
	v_mul_f32_e32 v39, v102, v0
	v_fmac_f32_e32 v38, v101, v0
	v_fmac_f32_e32 v40, v103, v2
	v_mul_f64_e32 v[4:5], s[0:1], v[4:5]
	s_delay_alu instid0(VALU_DEP_3)
	v_cvt_f64_f32_e32 v[2:3], v38
	v_fma_f32 v15, v101, v1, -v39
	v_cvt_f64_f32_e32 v[0:1], v14
	v_cvt_f64_f32_e32 v[38:39], v40
	;; [unrolled: 1-line block ×3, first 2 shown]
	v_mul_f64_e32 v[24:25], s[0:1], v[24:25]
	v_cvt_f64_f32_e32 v[14:15], v15
	v_mul_f64_e32 v[12:13], s[0:1], v[12:13]
	v_mul_f64_e32 v[36:37], s[0:1], v[36:37]
	;; [unrolled: 1-line block ×5, first 2 shown]
	v_cvt_f32_f64_e32 v10, v[10:11]
	v_mul_f64_e32 v[2:3], s[0:1], v[2:3]
	v_mul_f64_e32 v[0:1], s[0:1], v[0:1]
	;; [unrolled: 1-line block ×5, first 2 shown]
	v_cvt_f32_f64_e32 v11, v[12:13]
	v_cvt_f32_f64_e32 v12, v[32:33]
	;; [unrolled: 1-line block ×3, first 2 shown]
	v_mad_co_u64_u32 v[44:45], null, s7, v84, v[17:18]
	v_dual_mul_f32 v30, v90, v9 :: v_dual_mov_b32 v17, v43
	v_fmac_f32_e32 v28, v85, v6
	s_delay_alu instid0(VALU_DEP_2) | instskip(NEXT) | instid1(VALU_DEP_2)
	v_mad_co_u64_u32 v[45:46], null, s5, v115, v[17:18]
	v_cvt_f64_f32_e32 v[6:7], v28
	s_delay_alu instid0(VALU_DEP_4)
	v_dual_mov_b32 v17, v44 :: v_dual_fmac_f32 v30, v89, v8
	v_cvt_f64_f32_e32 v[8:9], v29
	v_cvt_f32_f64_e32 v18, v[18:19]
	v_cvt_f32_f64_e32 v19, v[4:5]
	v_mov_b32_e32 v43, v45
	v_cvt_f64_f32_e32 v[28:29], v30
	v_cvt_f64_f32_e32 v[30:31], v31
	v_lshlrev_b64_e32 v[16:17], 3, v[16:17]
	s_delay_alu instid0(VALU_DEP_4) | instskip(NEXT) | instid1(VALU_DEP_2)
	v_lshlrev_b64_e32 v[42:43], 3, v[42:43]
	v_add_co_u32 v16, vcc_lo, s2, v16
	s_wait_alu 0xfffd
	s_delay_alu instid0(VALU_DEP_3) | instskip(NEXT) | instid1(VALU_DEP_2)
	v_add_co_ci_u32_e32 v17, vcc_lo, s3, v17, vcc_lo
	v_add_co_u32 v4, vcc_lo, v16, v42
	s_wait_alu 0xfffd
	s_delay_alu instid0(VALU_DEP_2)
	v_add_co_ci_u32_e32 v5, vcc_lo, v17, v43, vcc_lo
	v_cvt_f32_f64_e32 v16, v[20:21]
	v_cvt_f32_f64_e32 v17, v[22:23]
	;; [unrolled: 1-line block ×10, first 2 shown]
	v_mul_f64_e32 v[6:7], s[0:1], v[6:7]
	v_mul_f64_e32 v[8:9], s[0:1], v[8:9]
	global_store_b64 v[4:5], v[18:19], off
	v_mul_f64_e32 v[28:29], s[0:1], v[28:29]
	v_mul_f64_e32 v[30:31], s[0:1], v[30:31]
	s_mul_u64 s[0:1], s[4:5], 0x510
	s_wait_alu 0xfffe
	v_add_co_u32 v20, vcc_lo, v4, s0
	s_wait_alu 0xfffd
	v_add_co_ci_u32_e32 v21, vcc_lo, s1, v5, vcc_lo
	global_store_b64 v[20:21], v[16:17], off
	v_cvt_f32_f64_e32 v6, v[6:7]
	v_cvt_f32_f64_e32 v7, v[8:9]
	v_add_co_u32 v8, vcc_lo, v20, s0
	s_wait_alu 0xfffd
	v_add_co_ci_u32_e32 v9, vcc_lo, s1, v21, vcc_lo
	v_cvt_f32_f64_e32 v24, v[28:29]
	v_cvt_f32_f64_e32 v25, v[30:31]
	v_add_co_u32 v14, vcc_lo, v8, s0
	s_wait_alu 0xfffd
	v_add_co_ci_u32_e32 v15, vcc_lo, s1, v9, vcc_lo
	global_store_b64 v[8:9], v[22:23], off
	v_add_co_u32 v28, vcc_lo, v14, s0
	s_wait_alu 0xfffd
	v_add_co_ci_u32_e32 v29, vcc_lo, s1, v15, vcc_lo
	s_delay_alu instid0(VALU_DEP_2) | instskip(SKIP_1) | instid1(VALU_DEP_2)
	v_add_co_u32 v4, vcc_lo, v28, s0
	s_wait_alu 0xfffd
	v_add_co_ci_u32_e32 v5, vcc_lo, s1, v29, vcc_lo
	s_delay_alu instid0(VALU_DEP_2) | instskip(SKIP_1) | instid1(VALU_DEP_2)
	;; [unrolled: 4-line block ×3, first 2 shown]
	v_add_co_u32 v8, vcc_lo, v16, s0
	s_wait_alu 0xfffd
	v_add_co_ci_u32_e32 v9, vcc_lo, s1, v17, vcc_lo
	global_store_b64 v[14:15], v[6:7], off
	v_add_co_u32 v6, vcc_lo, v8, s0
	s_wait_alu 0xfffd
	v_add_co_ci_u32_e32 v7, vcc_lo, s1, v9, vcc_lo
	s_delay_alu instid0(VALU_DEP_2) | instskip(SKIP_1) | instid1(VALU_DEP_2)
	v_add_co_u32 v14, vcc_lo, v6, s0
	s_wait_alu 0xfffd
	v_add_co_ci_u32_e32 v15, vcc_lo, s1, v7, vcc_lo
	global_store_b64 v[28:29], v[24:25], off
	global_store_b64 v[4:5], v[10:11], off
	;; [unrolled: 1-line block ×6, first 2 shown]
.LBB0_34:
	s_nop 0
	s_sendmsg sendmsg(MSG_DEALLOC_VGPRS)
	s_endpgm
	.section	.rodata,"a",@progbits
	.p2align	6, 0x0
	.amdhsa_kernel bluestein_single_back_len1620_dim1_sp_op_CI_CI
		.amdhsa_group_segment_fixed_size 12960
		.amdhsa_private_segment_fixed_size 0
		.amdhsa_kernarg_size 104
		.amdhsa_user_sgpr_count 2
		.amdhsa_user_sgpr_dispatch_ptr 0
		.amdhsa_user_sgpr_queue_ptr 0
		.amdhsa_user_sgpr_kernarg_segment_ptr 1
		.amdhsa_user_sgpr_dispatch_id 0
		.amdhsa_user_sgpr_private_segment_size 0
		.amdhsa_wavefront_size32 1
		.amdhsa_uses_dynamic_stack 0
		.amdhsa_enable_private_segment 0
		.amdhsa_system_sgpr_workgroup_id_x 1
		.amdhsa_system_sgpr_workgroup_id_y 0
		.amdhsa_system_sgpr_workgroup_id_z 0
		.amdhsa_system_sgpr_workgroup_info 0
		.amdhsa_system_vgpr_workitem_id 0
		.amdhsa_next_free_vgpr 162
		.amdhsa_next_free_sgpr 20
		.amdhsa_reserve_vcc 1
		.amdhsa_float_round_mode_32 0
		.amdhsa_float_round_mode_16_64 0
		.amdhsa_float_denorm_mode_32 3
		.amdhsa_float_denorm_mode_16_64 3
		.amdhsa_fp16_overflow 0
		.amdhsa_workgroup_processor_mode 1
		.amdhsa_memory_ordered 1
		.amdhsa_forward_progress 0
		.amdhsa_round_robin_scheduling 0
		.amdhsa_exception_fp_ieee_invalid_op 0
		.amdhsa_exception_fp_denorm_src 0
		.amdhsa_exception_fp_ieee_div_zero 0
		.amdhsa_exception_fp_ieee_overflow 0
		.amdhsa_exception_fp_ieee_underflow 0
		.amdhsa_exception_fp_ieee_inexact 0
		.amdhsa_exception_int_div_zero 0
	.end_amdhsa_kernel
	.text
.Lfunc_end0:
	.size	bluestein_single_back_len1620_dim1_sp_op_CI_CI, .Lfunc_end0-bluestein_single_back_len1620_dim1_sp_op_CI_CI
                                        ; -- End function
	.section	.AMDGPU.csdata,"",@progbits
; Kernel info:
; codeLenInByte = 12572
; NumSgprs: 22
; NumVgprs: 162
; ScratchSize: 0
; MemoryBound: 0
; FloatMode: 240
; IeeeMode: 1
; LDSByteSize: 12960 bytes/workgroup (compile time only)
; SGPRBlocks: 2
; VGPRBlocks: 20
; NumSGPRsForWavesPerEU: 22
; NumVGPRsForWavesPerEU: 162
; Occupancy: 9
; WaveLimiterHint : 1
; COMPUTE_PGM_RSRC2:SCRATCH_EN: 0
; COMPUTE_PGM_RSRC2:USER_SGPR: 2
; COMPUTE_PGM_RSRC2:TRAP_HANDLER: 0
; COMPUTE_PGM_RSRC2:TGID_X_EN: 1
; COMPUTE_PGM_RSRC2:TGID_Y_EN: 0
; COMPUTE_PGM_RSRC2:TGID_Z_EN: 0
; COMPUTE_PGM_RSRC2:TIDIG_COMP_CNT: 0
	.text
	.p2alignl 7, 3214868480
	.fill 96, 4, 3214868480
	.type	__hip_cuid_9d7ae16d9445c1c9,@object ; @__hip_cuid_9d7ae16d9445c1c9
	.section	.bss,"aw",@nobits
	.globl	__hip_cuid_9d7ae16d9445c1c9
__hip_cuid_9d7ae16d9445c1c9:
	.byte	0                               ; 0x0
	.size	__hip_cuid_9d7ae16d9445c1c9, 1

	.ident	"AMD clang version 19.0.0git (https://github.com/RadeonOpenCompute/llvm-project roc-6.4.0 25133 c7fe45cf4b819c5991fe208aaa96edf142730f1d)"
	.section	".note.GNU-stack","",@progbits
	.addrsig
	.addrsig_sym __hip_cuid_9d7ae16d9445c1c9
	.amdgpu_metadata
---
amdhsa.kernels:
  - .args:
      - .actual_access:  read_only
        .address_space:  global
        .offset:         0
        .size:           8
        .value_kind:     global_buffer
      - .actual_access:  read_only
        .address_space:  global
        .offset:         8
        .size:           8
        .value_kind:     global_buffer
      - .actual_access:  read_only
        .address_space:  global
        .offset:         16
        .size:           8
        .value_kind:     global_buffer
      - .actual_access:  read_only
        .address_space:  global
        .offset:         24
        .size:           8
        .value_kind:     global_buffer
      - .actual_access:  read_only
        .address_space:  global
        .offset:         32
        .size:           8
        .value_kind:     global_buffer
      - .offset:         40
        .size:           8
        .value_kind:     by_value
      - .address_space:  global
        .offset:         48
        .size:           8
        .value_kind:     global_buffer
      - .address_space:  global
        .offset:         56
        .size:           8
        .value_kind:     global_buffer
      - .address_space:  global
        .offset:         64
        .size:           8
        .value_kind:     global_buffer
      - .address_space:  global
        .offset:         72
        .size:           8
        .value_kind:     global_buffer
      - .offset:         80
        .size:           4
        .value_kind:     by_value
      - .address_space:  global
        .offset:         88
        .size:           8
        .value_kind:     global_buffer
      - .address_space:  global
        .offset:         96
        .size:           8
        .value_kind:     global_buffer
    .group_segment_fixed_size: 12960
    .kernarg_segment_align: 8
    .kernarg_segment_size: 104
    .language:       OpenCL C
    .language_version:
      - 2
      - 0
    .max_flat_workgroup_size: 162
    .name:           bluestein_single_back_len1620_dim1_sp_op_CI_CI
    .private_segment_fixed_size: 0
    .sgpr_count:     22
    .sgpr_spill_count: 0
    .symbol:         bluestein_single_back_len1620_dim1_sp_op_CI_CI.kd
    .uniform_work_group_size: 1
    .uses_dynamic_stack: false
    .vgpr_count:     162
    .vgpr_spill_count: 0
    .wavefront_size: 32
    .workgroup_processor_mode: 1
amdhsa.target:   amdgcn-amd-amdhsa--gfx1201
amdhsa.version:
  - 1
  - 2
...

	.end_amdgpu_metadata
